;; amdgpu-corpus repo=ROCm/rocFFT kind=compiled arch=gfx1201 opt=O3
	.text
	.amdgcn_target "amdgcn-amd-amdhsa--gfx1201"
	.amdhsa_code_object_version 6
	.protected	fft_rtc_back_len924_factors_2_2_3_7_11_wgs_44_tpt_44_halfLds_dp_ip_CI_unitstride_sbrr_C2R_dirReg ; -- Begin function fft_rtc_back_len924_factors_2_2_3_7_11_wgs_44_tpt_44_halfLds_dp_ip_CI_unitstride_sbrr_C2R_dirReg
	.globl	fft_rtc_back_len924_factors_2_2_3_7_11_wgs_44_tpt_44_halfLds_dp_ip_CI_unitstride_sbrr_C2R_dirReg
	.p2align	8
	.type	fft_rtc_back_len924_factors_2_2_3_7_11_wgs_44_tpt_44_halfLds_dp_ip_CI_unitstride_sbrr_C2R_dirReg,@function
fft_rtc_back_len924_factors_2_2_3_7_11_wgs_44_tpt_44_halfLds_dp_ip_CI_unitstride_sbrr_C2R_dirReg: ; @fft_rtc_back_len924_factors_2_2_3_7_11_wgs_44_tpt_44_halfLds_dp_ip_CI_unitstride_sbrr_C2R_dirReg
; %bb.0:
	s_clause 0x2
	s_load_b128 s[4:7], s[0:1], 0x0
	s_load_b64 s[8:9], s[0:1], 0x50
	s_load_b64 s[10:11], s[0:1], 0x18
	v_mul_u32_u24_e32 v1, 0x5d2, v0
	v_mov_b32_e32 v3, 0
	s_delay_alu instid0(VALU_DEP_2) | instskip(NEXT) | instid1(VALU_DEP_1)
	v_lshrrev_b32_e32 v1, 16, v1
	v_add_nc_u32_e32 v5, ttmp9, v1
	v_mov_b32_e32 v1, 0
	v_mov_b32_e32 v2, 0
	;; [unrolled: 1-line block ×3, first 2 shown]
	s_wait_kmcnt 0x0
	v_cmp_lt_u64_e64 s2, s[6:7], 2
	s_delay_alu instid0(VALU_DEP_1)
	s_and_b32 vcc_lo, exec_lo, s2
	s_cbranch_vccnz .LBB0_8
; %bb.1:
	s_load_b64 s[2:3], s[0:1], 0x10
	v_mov_b32_e32 v1, 0
	v_mov_b32_e32 v2, 0
	s_add_nc_u64 s[12:13], s[10:11], 8
	s_mov_b64 s[14:15], 1
	s_wait_kmcnt 0x0
	s_add_nc_u64 s[16:17], s[2:3], 8
	s_mov_b32 s3, 0
.LBB0_2:                                ; =>This Inner Loop Header: Depth=1
	s_load_b64 s[18:19], s[16:17], 0x0
                                        ; implicit-def: $vgpr7_vgpr8
	s_mov_b32 s2, exec_lo
	s_wait_kmcnt 0x0
	v_or_b32_e32 v4, s19, v6
	s_delay_alu instid0(VALU_DEP_1)
	v_cmpx_ne_u64_e32 0, v[3:4]
	s_wait_alu 0xfffe
	s_xor_b32 s20, exec_lo, s2
	s_cbranch_execz .LBB0_4
; %bb.3:                                ;   in Loop: Header=BB0_2 Depth=1
	s_cvt_f32_u32 s2, s18
	s_cvt_f32_u32 s21, s19
	s_sub_nc_u64 s[24:25], 0, s[18:19]
	s_wait_alu 0xfffe
	s_delay_alu instid0(SALU_CYCLE_1) | instskip(SKIP_1) | instid1(SALU_CYCLE_2)
	s_fmamk_f32 s2, s21, 0x4f800000, s2
	s_wait_alu 0xfffe
	v_s_rcp_f32 s2, s2
	s_delay_alu instid0(TRANS32_DEP_1) | instskip(SKIP_1) | instid1(SALU_CYCLE_2)
	s_mul_f32 s2, s2, 0x5f7ffffc
	s_wait_alu 0xfffe
	s_mul_f32 s21, s2, 0x2f800000
	s_wait_alu 0xfffe
	s_delay_alu instid0(SALU_CYCLE_2) | instskip(SKIP_1) | instid1(SALU_CYCLE_2)
	s_trunc_f32 s21, s21
	s_wait_alu 0xfffe
	s_fmamk_f32 s2, s21, 0xcf800000, s2
	s_cvt_u32_f32 s23, s21
	s_wait_alu 0xfffe
	s_delay_alu instid0(SALU_CYCLE_1) | instskip(SKIP_1) | instid1(SALU_CYCLE_2)
	s_cvt_u32_f32 s22, s2
	s_wait_alu 0xfffe
	s_mul_u64 s[26:27], s[24:25], s[22:23]
	s_wait_alu 0xfffe
	s_mul_hi_u32 s29, s22, s27
	s_mul_i32 s28, s22, s27
	s_mul_hi_u32 s2, s22, s26
	s_mul_i32 s30, s23, s26
	s_wait_alu 0xfffe
	s_add_nc_u64 s[28:29], s[2:3], s[28:29]
	s_mul_hi_u32 s21, s23, s26
	s_mul_hi_u32 s31, s23, s27
	s_add_co_u32 s2, s28, s30
	s_wait_alu 0xfffe
	s_add_co_ci_u32 s2, s29, s21
	s_mul_i32 s26, s23, s27
	s_add_co_ci_u32 s27, s31, 0
	s_wait_alu 0xfffe
	s_add_nc_u64 s[26:27], s[2:3], s[26:27]
	s_wait_alu 0xfffe
	v_add_co_u32 v4, s2, s22, s26
	s_delay_alu instid0(VALU_DEP_1) | instskip(SKIP_1) | instid1(VALU_DEP_1)
	s_cmp_lg_u32 s2, 0
	s_add_co_ci_u32 s23, s23, s27
	v_readfirstlane_b32 s22, v4
	s_wait_alu 0xfffe
	s_delay_alu instid0(VALU_DEP_1)
	s_mul_u64 s[24:25], s[24:25], s[22:23]
	s_wait_alu 0xfffe
	s_mul_hi_u32 s27, s22, s25
	s_mul_i32 s26, s22, s25
	s_mul_hi_u32 s2, s22, s24
	s_mul_i32 s28, s23, s24
	s_wait_alu 0xfffe
	s_add_nc_u64 s[26:27], s[2:3], s[26:27]
	s_mul_hi_u32 s21, s23, s24
	s_mul_hi_u32 s22, s23, s25
	s_wait_alu 0xfffe
	s_add_co_u32 s2, s26, s28
	s_add_co_ci_u32 s2, s27, s21
	s_mul_i32 s24, s23, s25
	s_add_co_ci_u32 s25, s22, 0
	s_wait_alu 0xfffe
	s_add_nc_u64 s[24:25], s[2:3], s[24:25]
	s_wait_alu 0xfffe
	v_add_co_u32 v4, s2, v4, s24
	s_delay_alu instid0(VALU_DEP_1) | instskip(SKIP_1) | instid1(VALU_DEP_1)
	s_cmp_lg_u32 s2, 0
	s_add_co_ci_u32 s2, s23, s25
	v_mul_hi_u32 v13, v5, v4
	s_wait_alu 0xfffe
	v_mad_co_u64_u32 v[7:8], null, v5, s2, 0
	v_mad_co_u64_u32 v[9:10], null, v6, v4, 0
	;; [unrolled: 1-line block ×3, first 2 shown]
	s_delay_alu instid0(VALU_DEP_3) | instskip(SKIP_1) | instid1(VALU_DEP_4)
	v_add_co_u32 v4, vcc_lo, v13, v7
	s_wait_alu 0xfffd
	v_add_co_ci_u32_e32 v7, vcc_lo, 0, v8, vcc_lo
	s_delay_alu instid0(VALU_DEP_2) | instskip(SKIP_1) | instid1(VALU_DEP_2)
	v_add_co_u32 v4, vcc_lo, v4, v9
	s_wait_alu 0xfffd
	v_add_co_ci_u32_e32 v4, vcc_lo, v7, v10, vcc_lo
	s_wait_alu 0xfffd
	v_add_co_ci_u32_e32 v7, vcc_lo, 0, v12, vcc_lo
	s_delay_alu instid0(VALU_DEP_2) | instskip(SKIP_1) | instid1(VALU_DEP_2)
	v_add_co_u32 v4, vcc_lo, v4, v11
	s_wait_alu 0xfffd
	v_add_co_ci_u32_e32 v9, vcc_lo, 0, v7, vcc_lo
	s_delay_alu instid0(VALU_DEP_2) | instskip(SKIP_1) | instid1(VALU_DEP_3)
	v_mul_lo_u32 v10, s19, v4
	v_mad_co_u64_u32 v[7:8], null, s18, v4, 0
	v_mul_lo_u32 v11, s18, v9
	s_delay_alu instid0(VALU_DEP_2) | instskip(NEXT) | instid1(VALU_DEP_2)
	v_sub_co_u32 v7, vcc_lo, v5, v7
	v_add3_u32 v8, v8, v11, v10
	s_delay_alu instid0(VALU_DEP_1) | instskip(SKIP_1) | instid1(VALU_DEP_1)
	v_sub_nc_u32_e32 v10, v6, v8
	s_wait_alu 0xfffd
	v_subrev_co_ci_u32_e64 v10, s2, s19, v10, vcc_lo
	v_add_co_u32 v11, s2, v4, 2
	s_wait_alu 0xf1ff
	v_add_co_ci_u32_e64 v12, s2, 0, v9, s2
	v_sub_co_u32 v13, s2, v7, s18
	v_sub_co_ci_u32_e32 v8, vcc_lo, v6, v8, vcc_lo
	s_wait_alu 0xf1ff
	v_subrev_co_ci_u32_e64 v10, s2, 0, v10, s2
	s_delay_alu instid0(VALU_DEP_3) | instskip(NEXT) | instid1(VALU_DEP_3)
	v_cmp_le_u32_e32 vcc_lo, s18, v13
	v_cmp_eq_u32_e64 s2, s19, v8
	s_wait_alu 0xfffd
	v_cndmask_b32_e64 v13, 0, -1, vcc_lo
	v_cmp_le_u32_e32 vcc_lo, s19, v10
	s_wait_alu 0xfffd
	v_cndmask_b32_e64 v14, 0, -1, vcc_lo
	v_cmp_le_u32_e32 vcc_lo, s18, v7
	;; [unrolled: 3-line block ×3, first 2 shown]
	s_wait_alu 0xfffd
	v_cndmask_b32_e64 v15, 0, -1, vcc_lo
	v_cmp_eq_u32_e32 vcc_lo, s19, v10
	s_wait_alu 0xf1ff
	s_delay_alu instid0(VALU_DEP_2)
	v_cndmask_b32_e64 v7, v15, v7, s2
	s_wait_alu 0xfffd
	v_cndmask_b32_e32 v10, v14, v13, vcc_lo
	v_add_co_u32 v13, vcc_lo, v4, 1
	s_wait_alu 0xfffd
	v_add_co_ci_u32_e32 v14, vcc_lo, 0, v9, vcc_lo
	s_delay_alu instid0(VALU_DEP_3) | instskip(SKIP_2) | instid1(VALU_DEP_3)
	v_cmp_ne_u32_e32 vcc_lo, 0, v10
	s_wait_alu 0xfffd
	v_cndmask_b32_e32 v10, v13, v11, vcc_lo
	v_cndmask_b32_e32 v8, v14, v12, vcc_lo
	v_cmp_ne_u32_e32 vcc_lo, 0, v7
	s_wait_alu 0xfffd
	s_delay_alu instid0(VALU_DEP_2)
	v_dual_cndmask_b32 v7, v4, v10 :: v_dual_cndmask_b32 v8, v9, v8
.LBB0_4:                                ;   in Loop: Header=BB0_2 Depth=1
	s_wait_alu 0xfffe
	s_and_not1_saveexec_b32 s2, s20
	s_cbranch_execz .LBB0_6
; %bb.5:                                ;   in Loop: Header=BB0_2 Depth=1
	v_cvt_f32_u32_e32 v4, s18
	s_sub_co_i32 s20, 0, s18
	s_delay_alu instid0(VALU_DEP_1) | instskip(NEXT) | instid1(TRANS32_DEP_1)
	v_rcp_iflag_f32_e32 v4, v4
	v_mul_f32_e32 v4, 0x4f7ffffe, v4
	s_delay_alu instid0(VALU_DEP_1) | instskip(SKIP_1) | instid1(VALU_DEP_1)
	v_cvt_u32_f32_e32 v4, v4
	s_wait_alu 0xfffe
	v_mul_lo_u32 v7, s20, v4
	s_delay_alu instid0(VALU_DEP_1) | instskip(NEXT) | instid1(VALU_DEP_1)
	v_mul_hi_u32 v7, v4, v7
	v_add_nc_u32_e32 v4, v4, v7
	s_delay_alu instid0(VALU_DEP_1) | instskip(NEXT) | instid1(VALU_DEP_1)
	v_mul_hi_u32 v4, v5, v4
	v_mul_lo_u32 v7, v4, s18
	v_add_nc_u32_e32 v8, 1, v4
	s_delay_alu instid0(VALU_DEP_2) | instskip(NEXT) | instid1(VALU_DEP_1)
	v_sub_nc_u32_e32 v7, v5, v7
	v_subrev_nc_u32_e32 v9, s18, v7
	v_cmp_le_u32_e32 vcc_lo, s18, v7
	s_wait_alu 0xfffd
	s_delay_alu instid0(VALU_DEP_2) | instskip(NEXT) | instid1(VALU_DEP_1)
	v_dual_cndmask_b32 v7, v7, v9 :: v_dual_cndmask_b32 v4, v4, v8
	v_cmp_le_u32_e32 vcc_lo, s18, v7
	s_delay_alu instid0(VALU_DEP_2) | instskip(SKIP_1) | instid1(VALU_DEP_1)
	v_add_nc_u32_e32 v8, 1, v4
	s_wait_alu 0xfffd
	v_dual_cndmask_b32 v7, v4, v8 :: v_dual_mov_b32 v8, v3
.LBB0_6:                                ;   in Loop: Header=BB0_2 Depth=1
	s_wait_alu 0xfffe
	s_or_b32 exec_lo, exec_lo, s2
	s_load_b64 s[20:21], s[12:13], 0x0
	s_delay_alu instid0(VALU_DEP_1)
	v_mul_lo_u32 v4, v8, s18
	v_mul_lo_u32 v11, v7, s19
	v_mad_co_u64_u32 v[9:10], null, v7, s18, 0
	s_add_nc_u64 s[14:15], s[14:15], 1
	s_add_nc_u64 s[12:13], s[12:13], 8
	s_wait_alu 0xfffe
	v_cmp_ge_u64_e64 s2, s[14:15], s[6:7]
	s_add_nc_u64 s[16:17], s[16:17], 8
	s_delay_alu instid0(VALU_DEP_2) | instskip(NEXT) | instid1(VALU_DEP_3)
	v_add3_u32 v4, v10, v11, v4
	v_sub_co_u32 v5, vcc_lo, v5, v9
	s_wait_alu 0xfffd
	s_delay_alu instid0(VALU_DEP_2) | instskip(SKIP_3) | instid1(VALU_DEP_2)
	v_sub_co_ci_u32_e32 v4, vcc_lo, v6, v4, vcc_lo
	s_and_b32 vcc_lo, exec_lo, s2
	s_wait_kmcnt 0x0
	v_mul_lo_u32 v6, s21, v5
	v_mul_lo_u32 v4, s20, v4
	v_mad_co_u64_u32 v[1:2], null, s20, v5, v[1:2]
	s_delay_alu instid0(VALU_DEP_1)
	v_add3_u32 v2, v6, v2, v4
	s_wait_alu 0xfffe
	s_cbranch_vccnz .LBB0_9
; %bb.7:                                ;   in Loop: Header=BB0_2 Depth=1
	v_dual_mov_b32 v5, v7 :: v_dual_mov_b32 v6, v8
	s_branch .LBB0_2
.LBB0_8:
	v_dual_mov_b32 v8, v6 :: v_dual_mov_b32 v7, v5
.LBB0_9:
	s_lshl_b64 s[2:3], s[6:7], 3
	v_mul_hi_u32 v5, 0x5d1745e, v0
	s_wait_alu 0xfffe
	s_add_nc_u64 s[2:3], s[10:11], s[2:3]
	s_load_b64 s[2:3], s[2:3], 0x0
	s_load_b64 s[0:1], s[0:1], 0x20
	s_wait_kmcnt 0x0
	v_mul_lo_u32 v3, s2, v8
	v_mul_lo_u32 v4, s3, v7
	v_mad_co_u64_u32 v[1:2], null, s2, v7, v[1:2]
	v_cmp_gt_u64_e32 vcc_lo, s[0:1], v[7:8]
	s_delay_alu instid0(VALU_DEP_2) | instskip(SKIP_1) | instid1(VALU_DEP_2)
	v_add3_u32 v2, v4, v2, v3
	v_mul_u32_u24_e32 v3, 44, v5
	v_lshlrev_b64_e32 v[98:99], 4, v[1:2]
	s_delay_alu instid0(VALU_DEP_2)
	v_sub_nc_u32_e32 v96, v0, v3
	s_and_saveexec_b32 s1, vcc_lo
	s_cbranch_execz .LBB0_13
; %bb.10:
	v_mov_b32_e32 v97, 0
	s_delay_alu instid0(VALU_DEP_3) | instskip(SKIP_2) | instid1(VALU_DEP_3)
	v_add_co_u32 v0, s0, s8, v98
	s_wait_alu 0xf1ff
	v_add_co_ci_u32_e64 v1, s0, s9, v99, s0
	v_lshlrev_b64_e32 v[2:3], 4, v[96:97]
	v_lshl_add_u32 v86, v96, 4, 0
	s_delay_alu instid0(VALU_DEP_2) | instskip(SKIP_1) | instid1(VALU_DEP_3)
	v_add_co_u32 v82, s0, v0, v2
	s_wait_alu 0xf1ff
	v_add_co_ci_u32_e64 v83, s0, v1, v3, s0
	v_cmp_eq_u32_e64 s0, 43, v96
	s_clause 0x14
	global_load_b128 v[2:5], v[82:83], off
	global_load_b128 v[6:9], v[82:83], off offset:704
	global_load_b128 v[10:13], v[82:83], off offset:1408
	;; [unrolled: 1-line block ×20, first 2 shown]
	s_wait_loadcnt 0x14
	ds_store_b128 v86, v[2:5]
	s_wait_loadcnt 0x13
	ds_store_b128 v86, v[6:9] offset:704
	s_wait_loadcnt 0x12
	ds_store_b128 v86, v[10:13] offset:1408
	;; [unrolled: 2-line block ×20, first 2 shown]
	s_and_saveexec_b32 s2, s0
	s_cbranch_execz .LBB0_12
; %bb.11:
	global_load_b128 v[0:3], v[0:1], off offset:14784
	v_mov_b32_e32 v96, 43
	s_wait_loadcnt 0x0
	ds_store_b128 v97, v[0:3] offset:14784
.LBB0_12:
	s_wait_alu 0xfffe
	s_or_b32 exec_lo, exec_lo, s2
.LBB0_13:
	s_wait_alu 0xfffe
	s_or_b32 exec_lo, exec_lo, s1
	v_lshlrev_b32_e32 v0, 4, v96
	global_wb scope:SCOPE_SE
	s_wait_dscnt 0x0
	s_barrier_signal -1
	s_barrier_wait -1
	global_inv scope:SCOPE_SE
	v_add_nc_u32_e32 v152, 0, v0
	v_sub_nc_u32_e32 v10, 0, v0
	s_mov_b32 s1, exec_lo
                                        ; implicit-def: $vgpr4_vgpr5
	ds_load_b64 v[6:7], v152
	ds_load_b64 v[8:9], v10 offset:14784
	s_wait_dscnt 0x0
	v_add_f64_e32 v[0:1], v[6:7], v[8:9]
	v_add_f64_e64 v[2:3], v[6:7], -v[8:9]
	v_cmpx_ne_u32_e32 0, v96
	s_wait_alu 0xfffe
	s_xor_b32 s1, exec_lo, s1
	s_cbranch_execz .LBB0_15
; %bb.14:
	v_mov_b32_e32 v97, 0
	v_add_f64_e32 v[13:14], v[6:7], v[8:9]
	v_add_f64_e64 v[15:16], v[6:7], -v[8:9]
	s_delay_alu instid0(VALU_DEP_3) | instskip(NEXT) | instid1(VALU_DEP_1)
	v_lshlrev_b64_e32 v[0:1], 4, v[96:97]
	v_add_co_u32 v0, s0, s4, v0
	s_wait_alu 0xf1ff
	s_delay_alu instid0(VALU_DEP_2)
	v_add_co_ci_u32_e64 v1, s0, s5, v1, s0
	global_load_b128 v[2:5], v[0:1], off offset:14752
	ds_load_b64 v[0:1], v10 offset:14792
	ds_load_b64 v[11:12], v152 offset:8
	s_wait_dscnt 0x0
	v_add_f64_e32 v[6:7], v[0:1], v[11:12]
	v_add_f64_e64 v[0:1], v[11:12], -v[0:1]
	s_wait_loadcnt 0x0
	v_fma_f64 v[8:9], v[15:16], v[4:5], v[13:14]
	v_fma_f64 v[11:12], -v[15:16], v[4:5], v[13:14]
	s_delay_alu instid0(VALU_DEP_3) | instskip(SKIP_1) | instid1(VALU_DEP_4)
	v_fma_f64 v[13:14], v[6:7], v[4:5], -v[0:1]
	v_fma_f64 v[4:5], v[6:7], v[4:5], v[0:1]
	v_fma_f64 v[0:1], -v[6:7], v[2:3], v[8:9]
	s_delay_alu instid0(VALU_DEP_4) | instskip(NEXT) | instid1(VALU_DEP_4)
	v_fma_f64 v[6:7], v[6:7], v[2:3], v[11:12]
	v_fma_f64 v[8:9], v[15:16], v[2:3], v[13:14]
	s_delay_alu instid0(VALU_DEP_4)
	v_fma_f64 v[2:3], v[15:16], v[2:3], v[4:5]
	v_dual_mov_b32 v4, v96 :: v_dual_mov_b32 v5, v97
	ds_store_b128 v10, v[6:9] offset:14784
.LBB0_15:
	s_wait_alu 0xfffe
	s_and_not1_saveexec_b32 s0, s1
	s_cbranch_execz .LBB0_17
; %bb.16:
	v_mov_b32_e32 v8, 0
	ds_load_b128 v[4:7], v8 offset:7392
	s_wait_dscnt 0x0
	v_add_f64_e32 v[11:12], v[4:5], v[4:5]
	v_mul_f64_e32 v[13:14], -2.0, v[6:7]
	v_mov_b32_e32 v4, 0
	v_mov_b32_e32 v5, 0
	ds_store_b128 v8, v[11:14] offset:7392
.LBB0_17:
	s_wait_alu 0xfffe
	s_or_b32 exec_lo, exec_lo, s0
	v_lshlrev_b64_e32 v[4:5], 4, v[4:5]
	s_add_nc_u64 s[0:1], s[4:5], 0x39a0
	s_wait_alu 0xfffe
	s_delay_alu instid0(VALU_DEP_1) | instskip(SKIP_1) | instid1(VALU_DEP_2)
	v_add_co_u32 v4, s0, s0, v4
	s_wait_alu 0xf1ff
	v_add_co_ci_u32_e64 v5, s0, s1, v5, s0
	v_cmp_gt_u32_e64 s0, 22, v96
	s_clause 0x1
	global_load_b128 v[6:9], v[4:5], off offset:704
	global_load_b128 v[11:14], v[4:5], off offset:1408
	ds_store_b128 v152, v[0:3]
	ds_load_b128 v[0:3], v152 offset:704
	ds_load_b128 v[15:18], v10 offset:14080
	global_load_b128 v[19:22], v[4:5], off offset:2112
	s_wait_dscnt 0x0
	v_add_f64_e32 v[23:24], v[0:1], v[15:16]
	v_add_f64_e32 v[25:26], v[17:18], v[2:3]
	v_add_f64_e64 v[27:28], v[0:1], -v[15:16]
	v_add_f64_e64 v[0:1], v[2:3], -v[17:18]
	s_wait_loadcnt 0x2
	s_delay_alu instid0(VALU_DEP_2) | instskip(NEXT) | instid1(VALU_DEP_2)
	v_fma_f64 v[2:3], v[27:28], v[8:9], v[23:24]
	v_fma_f64 v[15:16], v[25:26], v[8:9], v[0:1]
	v_fma_f64 v[17:18], -v[27:28], v[8:9], v[23:24]
	v_fma_f64 v[8:9], v[25:26], v[8:9], -v[0:1]
	s_delay_alu instid0(VALU_DEP_4) | instskip(NEXT) | instid1(VALU_DEP_4)
	v_fma_f64 v[0:1], -v[25:26], v[6:7], v[2:3]
	v_fma_f64 v[2:3], v[27:28], v[6:7], v[15:16]
	s_delay_alu instid0(VALU_DEP_4) | instskip(NEXT) | instid1(VALU_DEP_4)
	v_fma_f64 v[15:16], v[25:26], v[6:7], v[17:18]
	v_fma_f64 v[17:18], v[27:28], v[6:7], v[8:9]
	ds_store_b128 v152, v[0:3] offset:704
	ds_store_b128 v10, v[15:18] offset:14080
	ds_load_b128 v[0:3], v152 offset:1408
	ds_load_b128 v[6:9], v10 offset:13376
	global_load_b128 v[15:18], v[4:5], off offset:2816
	s_wait_dscnt 0x0
	v_add_f64_e32 v[23:24], v[0:1], v[6:7]
	v_add_f64_e32 v[25:26], v[8:9], v[2:3]
	v_add_f64_e64 v[27:28], v[0:1], -v[6:7]
	v_add_f64_e64 v[0:1], v[2:3], -v[8:9]
	s_wait_loadcnt 0x2
	s_delay_alu instid0(VALU_DEP_2) | instskip(NEXT) | instid1(VALU_DEP_2)
	v_fma_f64 v[2:3], v[27:28], v[13:14], v[23:24]
	v_fma_f64 v[6:7], v[25:26], v[13:14], v[0:1]
	v_fma_f64 v[8:9], -v[27:28], v[13:14], v[23:24]
	v_fma_f64 v[13:14], v[25:26], v[13:14], -v[0:1]
	s_delay_alu instid0(VALU_DEP_4) | instskip(NEXT) | instid1(VALU_DEP_4)
	v_fma_f64 v[0:1], -v[25:26], v[11:12], v[2:3]
	v_fma_f64 v[2:3], v[27:28], v[11:12], v[6:7]
	s_delay_alu instid0(VALU_DEP_4) | instskip(NEXT) | instid1(VALU_DEP_4)
	v_fma_f64 v[6:7], v[25:26], v[11:12], v[8:9]
	v_fma_f64 v[8:9], v[27:28], v[11:12], v[13:14]
	ds_store_b128 v152, v[0:3] offset:1408
	ds_store_b128 v10, v[6:9] offset:13376
	;; [unrolled: 22-line block ×7, first 2 shown]
	ds_load_b128 v[0:3], v152 offset:5632
	ds_load_b128 v[6:9], v10 offset:9152
	s_wait_dscnt 0x0
	v_add_f64_e32 v[15:16], v[0:1], v[6:7]
	v_add_f64_e32 v[17:18], v[8:9], v[2:3]
	v_add_f64_e64 v[23:24], v[0:1], -v[6:7]
	v_add_f64_e64 v[0:1], v[2:3], -v[8:9]
	s_wait_loadcnt 0x1
	s_delay_alu instid0(VALU_DEP_2) | instskip(NEXT) | instid1(VALU_DEP_2)
	v_fma_f64 v[2:3], v[23:24], v[13:14], v[15:16]
	v_fma_f64 v[6:7], v[17:18], v[13:14], v[0:1]
	v_fma_f64 v[8:9], -v[23:24], v[13:14], v[15:16]
	v_fma_f64 v[13:14], v[17:18], v[13:14], -v[0:1]
	s_delay_alu instid0(VALU_DEP_4) | instskip(NEXT) | instid1(VALU_DEP_4)
	v_fma_f64 v[0:1], -v[17:18], v[11:12], v[2:3]
	v_fma_f64 v[2:3], v[23:24], v[11:12], v[6:7]
	s_delay_alu instid0(VALU_DEP_4) | instskip(NEXT) | instid1(VALU_DEP_4)
	v_fma_f64 v[6:7], v[17:18], v[11:12], v[8:9]
	v_fma_f64 v[8:9], v[23:24], v[11:12], v[13:14]
	ds_store_b128 v152, v[0:3] offset:5632
	ds_store_b128 v10, v[6:9] offset:9152
	ds_load_b128 v[0:3], v152 offset:6336
	ds_load_b128 v[6:9], v10 offset:8448
	s_wait_dscnt 0x0
	v_add_f64_e32 v[11:12], v[0:1], v[6:7]
	v_add_f64_e32 v[13:14], v[8:9], v[2:3]
	v_add_f64_e64 v[15:16], v[0:1], -v[6:7]
	v_add_f64_e64 v[0:1], v[2:3], -v[8:9]
	s_wait_loadcnt 0x0
	s_delay_alu instid0(VALU_DEP_2) | instskip(NEXT) | instid1(VALU_DEP_2)
	v_fma_f64 v[2:3], v[15:16], v[21:22], v[11:12]
	v_fma_f64 v[6:7], v[13:14], v[21:22], v[0:1]
	v_fma_f64 v[8:9], -v[15:16], v[21:22], v[11:12]
	v_fma_f64 v[11:12], v[13:14], v[21:22], -v[0:1]
	s_delay_alu instid0(VALU_DEP_4) | instskip(NEXT) | instid1(VALU_DEP_4)
	v_fma_f64 v[0:1], -v[13:14], v[19:20], v[2:3]
	v_fma_f64 v[2:3], v[15:16], v[19:20], v[6:7]
	s_delay_alu instid0(VALU_DEP_4) | instskip(NEXT) | instid1(VALU_DEP_4)
	v_fma_f64 v[6:7], v[13:14], v[19:20], v[8:9]
	v_fma_f64 v[8:9], v[15:16], v[19:20], v[11:12]
	ds_store_b128 v152, v[0:3] offset:6336
	ds_store_b128 v10, v[6:9] offset:8448
	s_and_saveexec_b32 s1, s0
	s_cbranch_execz .LBB0_19
; %bb.18:
	global_load_b128 v[0:3], v[4:5], off offset:7040
	ds_load_b128 v[4:7], v152 offset:7040
	ds_load_b128 v[11:14], v10 offset:7744
	s_wait_dscnt 0x0
	v_add_f64_e32 v[8:9], v[4:5], v[11:12]
	v_add_f64_e32 v[15:16], v[13:14], v[6:7]
	v_add_f64_e64 v[11:12], v[4:5], -v[11:12]
	v_add_f64_e64 v[4:5], v[6:7], -v[13:14]
	s_wait_loadcnt 0x0
	s_delay_alu instid0(VALU_DEP_2) | instskip(NEXT) | instid1(VALU_DEP_2)
	v_fma_f64 v[6:7], v[11:12], v[2:3], v[8:9]
	v_fma_f64 v[13:14], v[15:16], v[2:3], v[4:5]
	v_fma_f64 v[8:9], -v[11:12], v[2:3], v[8:9]
	v_fma_f64 v[17:18], v[15:16], v[2:3], -v[4:5]
	s_delay_alu instid0(VALU_DEP_4) | instskip(NEXT) | instid1(VALU_DEP_4)
	v_fma_f64 v[2:3], -v[15:16], v[0:1], v[6:7]
	v_fma_f64 v[4:5], v[11:12], v[0:1], v[13:14]
	s_delay_alu instid0(VALU_DEP_4) | instskip(NEXT) | instid1(VALU_DEP_4)
	v_fma_f64 v[6:7], v[15:16], v[0:1], v[8:9]
	v_fma_f64 v[8:9], v[11:12], v[0:1], v[17:18]
	ds_store_b128 v152, v[2:5] offset:7040
	ds_store_b128 v10, v[6:9] offset:7744
.LBB0_19:
	s_wait_alu 0xfffe
	s_or_b32 exec_lo, exec_lo, s1
	global_wb scope:SCOPE_SE
	s_wait_dscnt 0x0
	s_barrier_signal -1
	s_barrier_wait -1
	global_inv scope:SCOPE_SE
	global_wb scope:SCOPE_SE
	s_barrier_signal -1
	s_barrier_wait -1
	global_inv scope:SCOPE_SE
	ds_load_b128 v[0:3], v152 offset:7392
	ds_load_b128 v[4:7], v152
	ds_load_b128 v[8:11], v152 offset:704
	ds_load_b128 v[12:15], v152 offset:8096
	;; [unrolled: 1-line block ×19, first 2 shown]
	s_wait_dscnt 0x13
	v_add_f64_e64 v[80:81], v[4:5], -v[0:1]
	v_add_f64_e64 v[82:83], v[6:7], -v[2:3]
	ds_load_b128 v[0:3], v152 offset:13728
	s_wait_dscnt 0x12
	v_add_f64_e64 v[12:13], v[8:9], -v[12:13]
	v_add_f64_e64 v[14:15], v[10:11], -v[14:15]
	s_wait_dscnt 0x10
	v_add_f64_e64 v[16:17], v[20:21], -v[16:17]
	v_add_f64_e64 v[18:19], v[22:23], -v[18:19]
	;; [unrolled: 3-line block ×3, first 2 shown]
	s_wait_dscnt 0xc
	v_add_f64_e64 v[32:33], v[36:37], -v[32:33]
	s_wait_dscnt 0xa
	v_add_f64_e64 v[44:45], v[40:41], -v[44:45]
	v_add_f64_e64 v[46:47], v[42:43], -v[46:47]
	;; [unrolled: 1-line block ×3, first 2 shown]
	s_wait_dscnt 0x8
	v_add_f64_e64 v[48:49], v[52:53], -v[48:49]
	v_add_f64_e64 v[50:51], v[54:55], -v[50:51]
	s_wait_dscnt 0x6
	v_add_f64_e64 v[60:61], v[56:57], -v[60:61]
	v_add_f64_e64 v[62:63], v[58:59], -v[62:63]
	;; [unrolled: 3-line block ×3, first 2 shown]
	v_add_nc_u32_e32 v97, 44, v96
	v_add_nc_u32_e32 v153, 0x58, v96
	v_lshl_add_u32 v95, v96, 5, 0
	s_wait_dscnt 0x0
	v_add_f64_e64 v[91:92], v[72:73], -v[0:1]
	v_add_f64_e64 v[93:94], v[74:75], -v[2:3]
	;; [unrolled: 1-line block ×4, first 2 shown]
	v_add_nc_u32_e32 v102, 0x84, v96
	v_add_nc_u32_e32 v100, 0xdc, v96
	v_add_nc_u32_e32 v101, 0xb0, v96
	v_add_nc_u32_e32 v132, 0x108, v96
	global_wb scope:SCOPE_SE
	s_barrier_signal -1
	s_barrier_wait -1
	global_inv scope:SCOPE_SE
	v_add_nc_u32_e32 v89, 0x134, v96
	v_add_nc_u32_e32 v90, 0x160, v96
	;; [unrolled: 1-line block ×4, first 2 shown]
	v_fma_f64 v[84:85], v[4:5], 2.0, -v[80:81]
	v_fma_f64 v[86:87], v[6:7], 2.0, -v[82:83]
	;; [unrolled: 1-line block ×22, first 2 shown]
	v_lshl_add_u32 v76, v97, 5, 0
	v_lshl_add_u32 v77, v153, 5, 0
	;; [unrolled: 1-line block ×4, first 2 shown]
	ds_store_b128 v95, v[84:87]
	ds_store_b128 v95, v[80:83] offset:16
	ds_store_b128 v76, v[8:11]
	ds_store_b128 v76, v[12:15] offset:16
	;; [unrolled: 2-line block ×3, first 2 shown]
	v_lshl_add_u32 v8, v100, 5, 0
	v_lshl_add_u32 v9, v132, 5, 0
	ds_store_b128 v78, v[24:27]
	ds_store_b128 v78, v[28:31] offset:16
	ds_store_b128 v79, v[36:39]
	ds_store_b128 v79, v[32:35] offset:16
	;; [unrolled: 2-line block ×3, first 2 shown]
	v_lshl_add_u32 v8, v89, 5, 0
	v_lshl_add_u32 v10, v90, 5, 0
	ds_store_b128 v9, v[52:55]
	ds_store_b128 v9, v[48:51] offset:16
	v_lshl_add_u32 v9, v106, 5, 0
	ds_store_b128 v8, v[56:59]
	ds_store_b128 v8, v[60:63] offset:16
	ds_store_b128 v10, v[68:71]
	ds_store_b128 v10, v[64:67] offset:16
	ds_store_b128 v9, v[72:75]
	ds_store_b128 v9, v[91:94] offset:16
	s_and_saveexec_b32 s1, s0
	s_cbranch_execz .LBB0_21
; %bb.20:
	v_lshl_add_u32 v8, v88, 5, 0
	ds_store_b128 v8, v[4:7]
	ds_store_b128 v8, v[0:3] offset:16
.LBB0_21:
	s_wait_alu 0xfffe
	s_or_b32 exec_lo, exec_lo, s1
	global_wb scope:SCOPE_SE
	s_wait_dscnt 0x0
	s_barrier_signal -1
	s_barrier_wait -1
	global_inv scope:SCOPE_SE
	ds_load_b128 v[8:11], v152
	ds_load_b128 v[12:15], v152 offset:704
	ds_load_b128 v[52:55], v152 offset:7392
	;; [unrolled: 1-line block ×19, first 2 shown]
	v_lshlrev_b32_e32 v105, 1, v96
	v_lshlrev_b32_e32 v104, 1, v97
	;; [unrolled: 1-line block ×10, first 2 shown]
	s_and_saveexec_b32 s1, s0
	s_cbranch_execz .LBB0_23
; %bb.22:
	ds_load_b128 v[4:7], v152 offset:7040
	ds_load_b128 v[0:3], v152 offset:14432
.LBB0_23:
	s_wait_alu 0xfffe
	s_or_b32 exec_lo, exec_lo, s1
	v_and_b32_e32 v106, 1, v96
	s_delay_alu instid0(VALU_DEP_1)
	v_lshlrev_b32_e32 v107, 4, v106
	v_and_or_b32 v105, 0x7c, v105, v106
	v_and_or_b32 v104, 0xfc, v104, v106
	;; [unrolled: 1-line block ×4, first 2 shown]
	global_load_b128 v[107:110], v107, s[4:5]
	v_and_or_b32 v94, 0x1fc, v94, v106
	v_and_or_b32 v93, 0x3fc, v93, v106
	;; [unrolled: 1-line block ×6, first 2 shown]
	v_lshl_add_u32 v105, v105, 4, 0
	v_lshl_add_u32 v104, v104, 4, 0
	;; [unrolled: 1-line block ×3, first 2 shown]
	global_wb scope:SCOPE_SE
	s_wait_loadcnt_dscnt 0x0
	s_barrier_signal -1
	s_barrier_wait -1
	global_inv scope:SCOPE_SE
	v_lshl_add_u32 v95, v95, 4, 0
	v_lshl_add_u32 v94, v94, 4, 0
	v_lshl_add_u32 v93, v93, 4, 0
	v_lshl_add_u32 v92, v92, 4, 0
	v_lshl_add_u32 v91, v91, 4, 0
	v_lshl_add_u32 v90, v90, 4, 0
	v_lshl_add_u32 v89, v89, 4, 0
	v_mul_f64_e32 v[111:112], v[54:55], v[109:110]
	v_mul_f64_e32 v[113:114], v[52:53], v[109:110]
	;; [unrolled: 1-line block ×20, first 2 shown]
	v_fma_f64 v[52:53], v[52:53], v[107:108], v[111:112]
	v_fma_f64 v[54:55], v[54:55], v[107:108], -v[113:114]
	v_fma_f64 v[60:61], v[60:61], v[107:108], v[119:120]
	v_fma_f64 v[119:120], v[64:65], v[107:108], v[133:134]
	v_mul_f64_e32 v[133:134], v[2:3], v[109:110]
	v_mul_f64_e32 v[109:110], v[0:1], v[109:110]
	v_fma_f64 v[111:112], v[48:49], v[107:108], v[115:116]
	v_fma_f64 v[113:114], v[50:51], v[107:108], -v[117:118]
	v_fma_f64 v[62:63], v[62:63], v[107:108], -v[121:122]
	v_fma_f64 v[115:116], v[56:57], v[107:108], v[123:124]
	v_fma_f64 v[117:118], v[58:59], v[107:108], -v[125:126]
	v_fma_f64 v[68:69], v[68:69], v[107:108], v[127:128]
	v_fma_f64 v[70:71], v[70:71], v[107:108], -v[129:130]
	v_fma_f64 v[121:122], v[66:67], v[107:108], -v[135:136]
	v_fma_f64 v[76:77], v[76:77], v[107:108], v[137:138]
	v_fma_f64 v[78:79], v[78:79], v[107:108], -v[139:140]
	v_fma_f64 v[123:124], v[72:73], v[107:108], v[141:142]
	v_fma_f64 v[125:126], v[74:75], v[107:108], -v[143:144]
	v_fma_f64 v[84:85], v[84:85], v[107:108], v[145:146]
	v_fma_f64 v[86:87], v[86:87], v[107:108], -v[147:148]
	v_fma_f64 v[127:128], v[80:81], v[107:108], v[149:150]
	v_fma_f64 v[129:130], v[82:83], v[107:108], -v[154:155]
	v_add_f64_e64 v[48:49], v[8:9], -v[52:53]
	v_add_f64_e64 v[50:51], v[10:11], -v[54:55]
	;; [unrolled: 1-line block ×3, first 2 shown]
	v_fma_f64 v[0:1], v[0:1], v[107:108], v[133:134]
	v_fma_f64 v[2:3], v[2:3], v[107:108], -v[109:110]
	v_add_f64_e64 v[52:53], v[12:13], -v[111:112]
	v_add_f64_e64 v[54:55], v[14:15], -v[113:114]
	;; [unrolled: 1-line block ×17, first 2 shown]
	v_fma_f64 v[8:9], v[8:9], 2.0, -v[48:49]
	v_fma_f64 v[10:11], v[10:11], 2.0, -v[50:51]
	;; [unrolled: 1-line block ×3, first 2 shown]
	v_add_f64_e64 v[0:1], v[4:5], -v[0:1]
	v_add_f64_e64 v[2:3], v[6:7], -v[2:3]
	v_fma_f64 v[12:13], v[12:13], 2.0, -v[52:53]
	v_fma_f64 v[14:15], v[14:15], 2.0, -v[54:55]
	;; [unrolled: 1-line block ×17, first 2 shown]
	ds_store_b128 v105, v[8:11]
	ds_store_b128 v105, v[48:51] offset:32
	ds_store_b128 v104, v[12:15]
	ds_store_b128 v104, v[52:55] offset:32
	;; [unrolled: 2-line block ×10, first 2 shown]
	s_and_saveexec_b32 s1, s0
	s_cbranch_execz .LBB0_25
; %bb.24:
	v_fma_f64 v[6:7], v[6:7], 2.0, -v[2:3]
	v_fma_f64 v[4:5], v[4:5], 2.0, -v[0:1]
	v_lshlrev_b32_e32 v8, 1, v88
	s_delay_alu instid0(VALU_DEP_1) | instskip(NEXT) | instid1(VALU_DEP_1)
	v_and_or_b32 v8, 0x3fc, v8, v106
	v_lshl_add_u32 v8, v8, 4, 0
	ds_store_b128 v8, v[4:7]
	ds_store_b128 v8, v[0:3] offset:32
.LBB0_25:
	s_wait_alu 0xfffe
	s_or_b32 exec_lo, exec_lo, s1
	v_and_b32_e32 v154, 3, v96
	global_wb scope:SCOPE_SE
	s_wait_dscnt 0x0
	s_barrier_signal -1
	s_barrier_wait -1
	global_inv scope:SCOPE_SE
	v_lshlrev_b32_e32 v4, 5, v154
	v_lshrrev_b32_e32 v158, 2, v102
	v_lshrrev_b32_e32 v159, 2, v101
	;; [unrolled: 1-line block ×4, first 2 shown]
	s_clause 0x1
	global_load_b128 v[12:15], v4, s[4:5] offset:32
	global_load_b128 v[8:11], v4, s[4:5] offset:48
	ds_load_b128 v[56:59], v152 offset:9856
	ds_load_b128 v[44:47], v152 offset:10560
	;; [unrolled: 1-line block ×15, first 2 shown]
	ds_load_b128 v[88:91], v152
	ds_load_b128 v[84:87], v152 offset:704
	ds_load_b128 v[80:83], v152 offset:1408
	;; [unrolled: 1-line block ×5, first 2 shown]
	v_and_b32_e32 v162, 0xff, v96
	v_and_b32_e32 v163, 0xff, v97
	v_lshrrev_b32_e32 v155, 2, v96
	v_lshrrev_b32_e32 v156, 2, v97
	;; [unrolled: 1-line block ×3, first 2 shown]
	v_and_b32_e32 v164, 0xff, v153
	v_mul_u32_u24_e32 v158, 12, v158
	v_mul_u32_u24_e32 v155, 12, v155
	;; [unrolled: 1-line block ×5, first 2 shown]
	v_or_b32_e32 v158, v158, v154
	s_mov_b32 s0, 0xe8584caa
	v_or_b32_e32 v156, v156, v154
	v_or_b32_e32 v157, v157, v154
	;; [unrolled: 1-line block ×3, first 2 shown]
	s_mov_b32 s1, 0xbfebb67a
	s_mov_b32 s3, 0x3febb67a
	s_wait_alu 0xfffe
	s_mov_b32 s2, s0
	global_wb scope:SCOPE_SE
	s_wait_loadcnt_dscnt 0x0
	s_barrier_signal -1
	s_barrier_wait -1
	global_inv scope:SCOPE_SE
	s_mov_b32 s14, 0x37e14327
	s_mov_b32 s16, 0xe976ee23
	;; [unrolled: 1-line block ×13, first 2 shown]
	s_wait_alu 0xfffe
	s_mov_b32 s18, s20
	v_mul_f64_e32 v[100:101], v[78:79], v[14:15]
	v_mul_f64_e32 v[102:103], v[76:77], v[14:15]
	;; [unrolled: 1-line block ×28, first 2 shown]
	v_fma_f64 v[76:77], v[76:77], v[12:13], v[100:101]
	v_fma_f64 v[78:79], v[78:79], v[12:13], -v[102:103]
	v_fma_f64 v[56:57], v[56:57], v[8:9], v[104:105]
	v_fma_f64 v[58:59], v[58:59], v[8:9], -v[106:107]
	;; [unrolled: 2-line block ×8, first 2 shown]
	v_fma_f64 v[24:25], v[24:25], v[12:13], v[132:133]
	v_fma_f64 v[28:29], v[28:29], v[8:9], v[136:137]
	v_fma_f64 v[26:27], v[26:27], v[12:13], -v[134:135]
	v_fma_f64 v[30:31], v[30:31], v[8:9], -v[138:139]
	v_fma_f64 v[32:33], v[32:33], v[12:13], v[140:141]
	v_fma_f64 v[100:101], v[16:17], v[8:9], v[144:145]
	v_fma_f64 v[16:17], v[34:35], v[12:13], -v[142:143]
	v_fma_f64 v[34:35], v[18:19], v[8:9], -v[146:147]
	;; [unrolled: 4-line block ×3, first 2 shown]
	v_mul_lo_u16 v8, 0xab, v162
	v_mul_u32_u24_e32 v102, 12, v160
	v_mul_lo_u16 v160, 0xab, v163
	v_mul_u32_u24_e32 v15, 12, v161
	v_mul_lo_u16 v161, 0xab, v164
	v_lshrrev_b16 v12, 11, v8
	v_or_b32_e32 v163, v102, v154
	v_or_b32_e32 v162, v155, v154
	;; [unrolled: 1-line block ×3, first 2 shown]
	s_delay_alu instid0(VALU_DEP_4)
	v_mul_lo_u16 v165, v12, 12
	v_add_f64_e32 v[110:111], v[88:89], v[76:77]
	v_add_f64_e32 v[8:9], v[76:77], v[56:57]
	;; [unrolled: 1-line block ×7, first 2 shown]
	v_add_f64_e64 v[78:79], v[78:79], -v[58:59]
	v_add_f64_e32 v[128:129], v[82:83], v[50:51]
	v_add_f64_e32 v[102:103], v[48:49], v[40:41]
	;; [unrolled: 1-line block ×11, first 2 shown]
	v_add_f64_e64 v[76:77], v[76:77], -v[56:57]
	v_add_f64_e32 v[122:123], v[32:33], v[100:101]
	v_add_f64_e32 v[144:145], v[66:67], v[16:17]
	;; [unrolled: 1-line block ×3, first 2 shown]
	v_add_f64_e64 v[150:151], v[50:51], -v[42:43]
	v_add_f64_e32 v[130:131], v[18:19], v[92:93]
	v_add_f64_e32 v[124:125], v[80:81], v[48:49]
	;; [unrolled: 1-line block ×4, first 2 shown]
	v_add_f64_e64 v[62:63], v[62:63], -v[46:47]
	v_add_f64_e64 v[60:61], v[60:61], -v[44:45]
	v_add_f64_e32 v[142:143], v[64:65], v[32:33]
	v_add_f64_e32 v[146:147], v[4:5], v[18:19]
	;; [unrolled: 1-line block ×3, first 2 shown]
	v_add_f64_e64 v[13:14], v[13:14], -v[94:95]
	v_add_f64_e64 v[154:155], v[18:19], -v[92:93]
	v_fma_f64 v[88:89], v[8:9], -0.5, v[88:89]
	v_fma_f64 v[50:51], v[10:11], -0.5, v[90:91]
	v_add_f64_e64 v[90:91], v[48:49], -v[40:41]
	v_add_f64_e32 v[8:9], v[110:111], v[56:57]
	v_fma_f64 v[48:49], v[20:21], -0.5, v[84:85]
	v_add_f64_e64 v[84:85], v[54:55], -v[38:39]
	v_fma_f64 v[54:55], v[22:23], -0.5, v[86:87]
	v_add_f64_e64 v[86:87], v[52:53], -v[36:37]
	v_fma_f64 v[80:81], v[102:103], -0.5, v[80:81]
	v_fma_f64 v[82:83], v[104:105], -0.5, v[82:83]
	v_add_f64_e64 v[102:103], v[26:27], -v[30:31]
	v_add_f64_e64 v[104:105], v[24:25], -v[28:29]
	v_fma_f64 v[72:73], v[106:107], -0.5, v[72:73]
	v_fma_f64 v[74:75], v[108:109], -0.5, v[74:75]
	v_add_f64_e64 v[106:107], v[16:17], -v[34:35]
	v_fma_f64 v[114:115], v[114:115], -0.5, v[68:69]
	v_add_f64_e64 v[108:109], v[32:33], -v[100:101]
	v_fma_f64 v[118:119], v[118:119], -0.5, v[70:71]
	v_add_f64_e32 v[10:11], v[112:113], v[58:59]
	v_fma_f64 v[122:123], v[122:123], -0.5, v[64:65]
	v_add_f64_e32 v[19:20], v[132:133], v[36:37]
	;; [unrolled: 2-line block ×5, first 2 shown]
	v_add_f64_e32 v[25:26], v[140:141], v[30:31]
	v_add_f64_e32 v[29:30], v[144:145], v[34:35]
	;; [unrolled: 1-line block ×8, first 2 shown]
	v_sub_nc_u16 v43, v96, v165
	v_lshl_add_u32 v94, v162, 4, 0
	v_lshl_add_u32 v95, v156, 4, 0
	v_fma_f64 v[35:36], v[78:79], s[0:1], v[88:89]
	v_fma_f64 v[37:38], v[76:77], s[2:3], v[50:51]
	v_fma_f64 v[39:40], v[78:79], s[2:3], v[88:89]
	v_fma_f64 v[41:42], v[76:77], s[0:1], v[50:51]
	v_fma_f64 v[46:47], v[62:63], s[0:1], v[48:49]
	v_fma_f64 v[50:51], v[62:63], s[2:3], v[48:49]
	v_fma_f64 v[48:49], v[60:61], s[2:3], v[54:55]
	v_fma_f64 v[52:53], v[60:61], s[0:1], v[54:55]
	v_fma_f64 v[54:55], v[150:151], s[0:1], v[80:81]
	v_fma_f64 v[56:57], v[90:91], s[2:3], v[82:83]
	v_fma_f64 v[58:59], v[150:151], s[2:3], v[80:81]
	v_fma_f64 v[60:61], v[90:91], s[0:1], v[82:83]
	v_fma_f64 v[62:63], v[84:85], s[0:1], v[72:73]
	v_fma_f64 v[64:65], v[86:87], s[2:3], v[74:75]
	v_fma_f64 v[66:67], v[84:85], s[2:3], v[72:73]
	v_fma_f64 v[68:69], v[86:87], s[0:1], v[74:75]
	v_fma_f64 v[70:71], v[102:103], s[0:1], v[114:115]
	v_fma_f64 v[72:73], v[104:105], s[2:3], v[118:119]
	v_fma_f64 v[74:75], v[102:103], s[2:3], v[114:115]
	v_fma_f64 v[76:77], v[104:105], s[0:1], v[118:119]
	v_fma_f64 v[78:79], v[106:107], s[0:1], v[122:123]
	v_fma_f64 v[80:81], v[108:109], s[2:3], v[110:111]
	v_fma_f64 v[82:83], v[106:107], s[2:3], v[122:123]
	v_fma_f64 v[84:85], v[108:109], s[0:1], v[110:111]
	v_fma_f64 v[86:87], v[13:14], s[0:1], v[112:113]
	v_fma_f64 v[90:91], v[13:14], s[2:3], v[112:113]
	v_fma_f64 v[88:89], v[154:155], s[2:3], v[44:45]
	v_lshrrev_b16 v14, 11, v160
	v_fma_f64 v[92:93], v[154:155], s[0:1], v[44:45]
	v_and_b32_e32 v44, 0xff, v43
	v_lshrrev_b16 v13, 11, v161
	v_lshl_add_u32 v43, v157, 4, 0
	v_mul_lo_u16 v45, v14, 12
	v_lshl_add_u32 v100, v158, 4, 0
	v_mul_u32_u24_e32 v102, 6, v44
	v_mul_lo_u16 v105, v13, 12
	v_lshl_add_u32 v101, v159, 4, 0
	v_sub_nc_u16 v45, v97, v45
	v_lshl_add_u32 v103, v163, 4, 0
	v_lshlrev_b32_e32 v102, 4, v102
	v_lshl_add_u32 v104, v164, 4, 0
	ds_store_b128 v94, v[8:11]
	ds_store_b128 v94, v[35:38] offset:64
	ds_store_b128 v94, v[39:42] offset:128
	ds_store_b128 v95, v[4:7]
	ds_store_b128 v95, v[46:49] offset:64
	ds_store_b128 v95, v[50:53] offset:128
	;; [unrolled: 3-line block ×7, first 2 shown]
	v_and_b32_e32 v45, 0xff, v45
	v_sub_nc_u16 v4, v153, v105
	global_wb scope:SCOPE_SE
	s_wait_dscnt 0x0
	s_barrier_signal -1
	s_barrier_wait -1
	v_mul_u32_u24_e32 v5, 6, v45
	global_inv scope:SCOPE_SE
	s_clause 0x3
	global_load_b128 v[8:11], v102, s[4:5] offset:160
	global_load_b128 v[15:18], v102, s[4:5] offset:176
	;; [unrolled: 1-line block ×4, first 2 shown]
	v_and_b32_e32 v46, 0xff, v4
	v_lshlrev_b32_e32 v4, 4, v5
	s_clause 0x3
	global_load_b128 v[27:30], v102, s[4:5] offset:192
	global_load_b128 v[31:34], v102, s[4:5] offset:208
	;; [unrolled: 1-line block ×4, first 2 shown]
	v_mul_u32_u24_e32 v5, 6, v46
	s_mov_b32 s0, 0x36b3c0b5
	s_mov_b32 s2, 0x429ad128
	;; [unrolled: 1-line block ×4, first 2 shown]
	v_lshlrev_b32_e32 v5, 4, v5
	s_clause 0x9
	global_load_b128 v[47:50], v4, s[4:5] offset:240
	global_load_b128 v[51:54], v4, s[4:5] offset:224
	;; [unrolled: 1-line block ×10, first 2 shown]
	ds_load_b128 v[87:90], v152 offset:2112
	ds_load_b128 v[91:94], v152 offset:4224
	;; [unrolled: 1-line block ×19, first 2 shown]
	v_and_b32_e32 v95, 0xffff, v12
	v_lshlrev_b32_e32 v44, 4, v44
	v_lshlrev_b32_e32 v45, 4, v45
	;; [unrolled: 1-line block ×3, first 2 shown]
	s_wait_loadcnt_dscnt 0x1112
	v_mul_f64_e32 v[165:166], v[89:90], v[10:11]
	v_mul_f64_e32 v[10:11], v[87:88], v[10:11]
	s_wait_loadcnt_dscnt 0x1011
	v_mul_f64_e32 v[167:168], v[93:94], v[17:18]
	v_mul_f64_e32 v[17:18], v[91:92], v[17:18]
	s_wait_loadcnt_dscnt 0xf10
	v_mul_f64_e32 v[169:170], v[102:103], v[21:22]
	s_wait_loadcnt_dscnt 0xe0f
	v_mul_f64_e32 v[171:172], v[106:107], v[25:26]
	v_mul_f64_e32 v[25:26], v[104:105], v[25:26]
	;; [unrolled: 1-line block ×3, first 2 shown]
	s_wait_loadcnt_dscnt 0xd0c
	v_mul_f64_e32 v[173:174], v[114:115], v[29:30]
	v_mul_f64_e32 v[29:30], v[112:113], v[29:30]
	s_wait_loadcnt_dscnt 0xc0a
	v_mul_f64_e32 v[175:176], v[122:123], v[33:34]
	v_mul_f64_e32 v[33:34], v[120:121], v[33:34]
	;; [unrolled: 3-line block ×3, first 2 shown]
	s_wait_loadcnt 0xa
	v_mul_f64_e32 v[179:180], v[110:111], v[41:42]
	v_mul_f64_e32 v[41:42], v[108:109], v[41:42]
	s_wait_loadcnt_dscnt 0x906
	v_mul_f64_e32 v[181:182], v[138:139], v[49:50]
	v_mul_f64_e32 v[49:50], v[136:137], v[49:50]
	s_wait_loadcnt_dscnt 0x804
	v_mul_f64_e32 v[183:184], v[146:147], v[53:54]
	v_mul_f64_e32 v[53:54], v[144:145], v[53:54]
	s_wait_loadcnt 0x7
	v_mul_f64_e32 v[185:186], v[142:143], v[57:58]
	v_mul_f64_e32 v[57:58], v[140:141], v[57:58]
	s_wait_loadcnt 0x6
	v_mul_f64_e32 v[187:188], v[118:119], v[61:62]
	v_mul_f64_e32 v[61:62], v[116:117], v[61:62]
	s_wait_loadcnt_dscnt 0x502
	v_mul_f64_e32 v[189:190], v[155:156], v[65:66]
	v_mul_f64_e32 v[65:66], v[153:154], v[65:66]
	s_wait_loadcnt 0x4
	v_mul_f64_e32 v[191:192], v[150:151], v[69:70]
	v_mul_f64_e32 v[69:70], v[148:149], v[69:70]
	s_wait_loadcnt_dscnt 0x301
	;; [unrolled: 6-line block ×3, first 2 shown]
	v_mul_f64_e32 v[197:198], v[163:164], v[81:82]
	v_mul_f64_e32 v[81:82], v[161:162], v[81:82]
	s_wait_loadcnt 0x0
	v_mul_f64_e32 v[199:200], v[130:131], v[85:86]
	v_fma_f64 v[87:88], v[87:88], v[8:9], v[165:166]
	v_fma_f64 v[8:9], v[89:90], v[8:9], -v[10:11]
	v_fma_f64 v[10:11], v[91:92], v[15:16], v[167:168]
	v_fma_f64 v[15:16], v[93:94], v[15:16], -v[17:18]
	;; [unrolled: 2-line block ×4, first 2 shown]
	v_mul_f64_e32 v[21:22], v[128:129], v[85:86]
	v_fma_f64 v[85:86], v[112:113], v[27:28], v[173:174]
	v_fma_f64 v[27:28], v[114:115], v[27:28], -v[29:30]
	v_fma_f64 v[29:30], v[120:121], v[31:32], v[175:176]
	v_fma_f64 v[31:32], v[122:123], v[31:32], -v[33:34]
	;; [unrolled: 2-line block ×13, first 2 shown]
	v_fma_f64 v[81:82], v[128:129], v[83:84], v[199:200]
	v_add_f64_e32 v[77:78], v[87:88], v[17:18]
	v_add_f64_e32 v[89:90], v[8:9], v[23:24]
	;; [unrolled: 1-line block ×4, first 2 shown]
	v_fma_f64 v[21:22], v[130:131], v[83:84], -v[21:22]
	v_add_f64_e64 v[25:26], v[10:11], -v[25:26]
	v_add_f64_e64 v[19:20], v[15:16], -v[19:20]
	v_add_f64_e32 v[108:109], v[85:86], v[29:30]
	v_add_f64_e32 v[110:111], v[27:28], v[31:32]
	v_add_f64_e64 v[29:30], v[29:30], -v[85:86]
	v_add_f64_e64 v[27:28], v[31:32], -v[27:28]
	;; [unrolled: 1-line block ×4, first 2 shown]
	v_add_f64_e32 v[83:84], v[33:34], v[41:42]
	v_add_f64_e32 v[102:103], v[35:36], v[47:48]
	;; [unrolled: 1-line block ×4, first 2 shown]
	v_add_f64_e64 v[37:38], v[37:38], -v[49:50]
	v_add_f64_e64 v[39:40], v[39:40], -v[51:52]
	;; [unrolled: 1-line block ×4, first 2 shown]
	v_add_f64_e32 v[112:113], v[53:54], v[61:62]
	v_add_f64_e32 v[114:115], v[55:56], v[63:64]
	;; [unrolled: 1-line block ×4, first 2 shown]
	v_add_f64_e64 v[55:56], v[55:56], -v[63:64]
	v_add_f64_e64 v[47:48], v[57:58], -v[65:66]
	v_add_f64_e32 v[85:86], v[69:70], v[73:74]
	v_add_f64_e64 v[49:50], v[73:74], -v[69:70]
	v_add_f64_e32 v[87:88], v[71:72], v[75:76]
	v_add_f64_e64 v[71:72], v[75:76], -v[71:72]
	v_add_f64_e64 v[41:42], v[53:54], -v[61:62]
	;; [unrolled: 1-line block ×3, first 2 shown]
	v_add_f64_e32 v[57:58], v[100:101], v[81:82]
	v_add_f64_e64 v[61:62], v[81:82], -v[100:101]
	ds_load_b128 v[8:11], v152
	ds_load_b128 v[15:18], v152 offset:704
	global_wb scope:SCOPE_SE
	s_wait_dscnt 0x0
	s_barrier_signal -1
	s_barrier_wait -1
	global_inv scope:SCOPE_SE
	v_add_f64_e32 v[51:52], v[91:92], v[77:78]
	v_add_f64_e32 v[69:70], v[93:94], v[89:90]
	;; [unrolled: 1-line block ×3, first 2 shown]
	v_add_f64_e64 v[21:22], v[21:22], -v[79:80]
	v_add_f64_e64 v[67:68], v[91:92], -v[77:78]
	;; [unrolled: 1-line block ×7, first 2 shown]
	v_add_f64_e32 v[93:94], v[29:30], v[25:26]
	v_add_f64_e32 v[100:101], v[27:28], v[19:20]
	v_add_f64_e64 v[120:121], v[29:30], -v[25:26]
	v_add_f64_e32 v[63:64], v[104:105], v[83:84]
	v_add_f64_e32 v[65:66], v[106:107], v[102:103]
	v_add_f64_e64 v[122:123], v[27:28], -v[19:20]
	v_add_f64_e64 v[19:20], v[19:20], -v[23:24]
	;; [unrolled: 1-line block ×6, first 2 shown]
	v_add_f64_e32 v[81:82], v[116:117], v[112:113]
	v_add_f64_e32 v[89:90], v[118:119], v[114:115]
	v_add_f64_e64 v[134:135], v[116:117], -v[112:113]
	v_add_f64_e64 v[136:137], v[118:119], -v[114:115]
	;; [unrolled: 1-line block ×3, first 2 shown]
	v_add_f64_e32 v[128:129], v[49:50], v[37:38]
	v_add_f64_e64 v[102:103], v[102:103], -v[87:88]
	v_add_f64_e64 v[130:131], v[71:72], -v[39:40]
	;; [unrolled: 1-line block ×5, first 2 shown]
	v_add_f64_e32 v[138:139], v[61:62], v[47:48]
	v_add_f64_e64 v[144:145], v[53:54], -v[55:56]
	v_add_f64_e64 v[27:28], v[23:24], -v[27:28]
	;; [unrolled: 1-line block ×3, first 2 shown]
	v_add_f64_e32 v[108:109], v[108:109], v[51:52]
	v_add_f64_e32 v[69:70], v[110:111], v[69:70]
	;; [unrolled: 1-line block ×3, first 2 shown]
	v_add_f64_e64 v[110:111], v[49:50], -v[37:38]
	v_add_f64_e64 v[37:38], v[37:38], -v[33:34]
	;; [unrolled: 1-line block ×5, first 2 shown]
	v_mul_f64_e32 v[75:76], s[14:15], v[75:76]
	v_mul_f64_e32 v[77:78], s[14:15], v[77:78]
	v_add_f64_e32 v[31:32], v[93:94], v[31:32]
	v_add_f64_e32 v[23:24], v[100:101], v[23:24]
	v_mul_f64_e32 v[120:121], s[16:17], v[120:121]
	v_add_f64_e32 v[63:64], v[85:86], v[63:64]
	v_add_f64_e32 v[65:66], v[87:88], v[65:66]
	;; [unrolled: 1-line block ×3, first 2 shown]
	v_add_f64_e64 v[87:88], v[112:113], -v[57:58]
	v_add_f64_e64 v[112:113], v[114:115], -v[59:60]
	;; [unrolled: 1-line block ×4, first 2 shown]
	v_mul_f64_e32 v[93:94], s[16:17], v[122:123]
	v_add_f64_e32 v[57:58], v[57:58], v[81:82]
	v_add_f64_e32 v[59:60], v[59:60], v[89:90]
	s_wait_alu 0xfffe
	v_mul_f64_e32 v[81:82], s[0:1], v[79:80]
	v_mul_f64_e32 v[89:90], s[0:1], v[91:92]
	;; [unrolled: 1-line block ×4, first 2 shown]
	v_add_f64_e64 v[71:72], v[35:36], -v[71:72]
	v_mul_f64_e32 v[83:84], s[14:15], v[83:84]
	v_mul_f64_e32 v[102:103], s[14:15], v[102:103]
	v_add_f64_e32 v[33:34], v[128:129], v[33:34]
	v_mul_f64_e32 v[128:129], s[16:17], v[130:131]
	v_mul_f64_e32 v[146:147], s[0:1], v[104:105]
	;; [unrolled: 1-line block ×3, first 2 shown]
	v_add_f64_e64 v[61:62], v[41:42], -v[61:62]
	v_add_f64_e64 v[21:22], v[55:56], -v[21:22]
	v_add_f64_e32 v[41:42], v[138:139], v[41:42]
	v_mul_f64_e32 v[138:139], s[2:3], v[144:145]
	v_add_f64_e32 v[47:48], v[8:9], v[108:109]
	v_add_f64_e32 v[49:50], v[10:11], v[69:70]
	;; [unrolled: 1-line block ×3, first 2 shown]
	v_mul_f64_e32 v[110:111], s[16:17], v[110:111]
	v_mul_f64_e32 v[130:131], s[2:3], v[37:38]
	;; [unrolled: 1-line block ×3, first 2 shown]
	v_fma_f64 v[25:26], v[25:26], s[2:3], -v[120:121]
	v_add_f64_e32 v[51:52], v[15:16], v[63:64]
	v_add_f64_e32 v[53:54], v[17:18], v[65:66]
	;; [unrolled: 1-line block ×3, first 2 shown]
	v_mul_f64_e32 v[17:18], s[14:15], v[87:88]
	v_mul_f64_e32 v[55:56], s[14:15], v[112:113]
	;; [unrolled: 1-line block ×5, first 2 shown]
	v_add_f64_e32 v[8:9], v[4:5], v[57:58]
	v_add_f64_e32 v[10:11], v[6:7], v[59:60]
	v_mul_f64_e32 v[85:86], s[0:1], v[114:115]
	v_mul_f64_e32 v[140:141], s[0:1], v[118:119]
	v_fma_f64 v[4:5], v[79:80], s[0:1], v[75:76]
	v_fma_f64 v[6:7], v[67:68], s[10:11], -v[81:82]
	v_fma_f64 v[67:68], v[67:68], s[12:13], -v[75:76]
	v_fma_f64 v[75:76], v[91:92], s[0:1], v[77:78]
	v_fma_f64 v[79:80], v[73:74], s[10:11], -v[89:90]
	v_fma_f64 v[73:74], v[73:74], s[12:13], -v[77:78]
	v_fma_f64 v[77:78], v[29:30], s[20:21], v[120:121]
	v_fma_f64 v[81:82], v[27:28], s[20:21], v[93:94]
	v_fma_f64 v[19:20], v[19:20], s[2:3], -v[93:94]
	v_fma_f64 v[27:28], v[27:28], s[18:19], -v[122:123]
	;; [unrolled: 1-line block ×3, first 2 shown]
	v_fma_f64 v[89:90], v[104:105], s[0:1], v[83:84]
	v_fma_f64 v[93:94], v[106:107], s[0:1], v[102:103]
	;; [unrolled: 1-line block ×6, first 2 shown]
	v_fma_f64 v[83:84], v[124:125], s[12:13], -v[83:84]
	v_fma_f64 v[37:38], v[37:38], s[2:3], -v[110:111]
	;; [unrolled: 1-line block ×8, first 2 shown]
	v_fma_f64 v[63:64], v[63:64], s[6:7], v[51:52]
	v_fma_f64 v[65:66], v[65:66], s[6:7], v[53:54]
	;; [unrolled: 1-line block ×6, first 2 shown]
	v_fma_f64 v[87:88], v[142:143], s[2:3], -v[87:88]
	v_fma_f64 v[57:58], v[57:58], s[6:7], v[8:9]
	v_fma_f64 v[59:60], v[59:60], s[6:7], v[10:11]
	v_fma_f64 v[61:62], v[61:62], s[18:19], -v[116:117]
	v_fma_f64 v[21:22], v[21:22], s[18:19], -v[138:139]
	;; [unrolled: 1-line block ×7, first 2 shown]
	s_mov_b32 s0, 0x37c3f68c
	s_mov_b32 s1, 0xbfdc38aa
	v_and_b32_e32 v134, 0xffff, v14
	s_wait_alu 0xfffe
	v_fma_f64 v[77:78], v[31:32], s[0:1], v[77:78]
	v_fma_f64 v[81:82], v[23:24], s[0:1], v[81:82]
	;; [unrolled: 1-line block ×5, first 2 shown]
	v_add_f64_e32 v[4:5], v[4:5], v[91:92]
	v_add_f64_e32 v[27:28], v[75:76], v[69:70]
	v_fma_f64 v[29:30], v[31:32], s[0:1], v[29:30]
	v_add_f64_e32 v[31:32], v[67:68], v[91:92]
	v_add_f64_e32 v[73:74], v[73:74], v[69:70]
	;; [unrolled: 1-line block ×4, first 2 shown]
	v_fma_f64 v[91:92], v[33:34], s[0:1], v[106:107]
	v_fma_f64 v[106:107], v[35:36], s[0:1], v[108:109]
	;; [unrolled: 1-line block ×6, first 2 shown]
	v_add_f64_e32 v[108:109], v[89:90], v[63:64]
	v_add_f64_e32 v[93:94], v[93:94], v[65:66]
	;; [unrolled: 1-line block ×6, first 2 shown]
	v_fma_f64 v[120:121], v[41:42], s[0:1], v[120:121]
	v_fma_f64 v[122:123], v[15:16], s[0:1], v[122:123]
	v_add_f64_e32 v[114:115], v[114:115], v[57:58]
	v_add_f64_e32 v[118:119], v[118:119], v[59:60]
	v_fma_f64 v[124:125], v[41:42], s[0:1], v[87:88]
	v_fma_f64 v[41:42], v[41:42], s[0:1], v[61:62]
	v_fma_f64 v[126:127], v[15:16], s[0:1], v[21:22]
	v_add_f64_e32 v[128:129], v[17:18], v[57:58]
	v_add_f64_e32 v[130:131], v[55:56], v[59:60]
	v_fma_f64 v[112:113], v[15:16], s[0:1], v[112:113]
	v_add_f64_e32 v[132:133], v[85:86], v[57:58]
	v_add_f64_e32 v[116:117], v[116:117], v[59:60]
	v_and_b32_e32 v135, 0xffff, v13
	v_cmp_gt_u32_e64 s0, 40, v96
	v_add_f64_e32 v[55:56], v[81:82], v[4:5]
	v_add_f64_e64 v[57:58], v[27:28], -v[77:78]
	v_add_f64_e64 v[75:76], v[4:5], -v[81:82]
	v_add_f64_e32 v[59:60], v[23:24], v[31:32]
	v_add_f64_e64 v[61:62], v[73:74], -v[29:30]
	v_add_f64_e64 v[63:64], v[6:7], -v[19:20]
	v_add_f64_e32 v[65:66], v[25:26], v[69:70]
	v_add_f64_e32 v[67:68], v[19:20], v[6:7]
	v_add_f64_e64 v[69:70], v[69:70], -v[25:26]
	v_add_f64_e64 v[71:72], v[31:32], -v[23:24]
	v_add_f64_e32 v[73:74], v[29:30], v[73:74]
	v_add_f64_e32 v[77:78], v[77:78], v[27:28]
	;; [unrolled: 1-line block ×3, first 2 shown]
	v_add_f64_e64 v[81:82], v[93:94], -v[91:92]
	v_add_f64_e32 v[83:84], v[35:36], v[110:111]
	v_add_f64_e64 v[85:86], v[102:103], -v[33:34]
	v_add_f64_e64 v[87:88], v[100:101], -v[39:40]
	v_add_f64_e32 v[89:90], v[37:38], v[104:105]
	v_add_f64_e32 v[4:5], v[39:40], v[100:101]
	v_add_f64_e64 v[6:7], v[104:105], -v[37:38]
	v_add_f64_e64 v[16:17], v[110:111], -v[35:36]
	v_add_f64_e32 v[18:19], v[33:34], v[102:103]
	v_add_f64_e64 v[12:13], v[108:109], -v[106:107]
	v_add_f64_e32 v[14:15], v[91:92], v[93:94]
	v_add_f64_e32 v[20:21], v[122:123], v[114:115]
	v_add_f64_e64 v[22:23], v[118:119], -v[120:121]
	v_add_f64_e32 v[24:25], v[126:127], v[128:129]
	v_add_f64_e64 v[26:27], v[130:131], -v[41:42]
	v_add_f64_e64 v[28:29], v[132:133], -v[112:113]
	v_add_f64_e32 v[30:31], v[124:125], v[116:117]
	v_add_f64_e32 v[32:33], v[112:113], v[132:133]
	v_add_f64_e64 v[34:35], v[116:117], -v[124:125]
	v_add_f64_e64 v[36:37], v[128:129], -v[126:127]
	v_add_f64_e32 v[38:39], v[41:42], v[130:131]
	v_add_f64_e64 v[40:41], v[114:115], -v[122:123]
	v_add_f64_e32 v[42:43], v[120:121], v[118:119]
	v_mul_u32_u24_e32 v91, 0x540, v95
	v_mul_u32_u24_e32 v92, 0x540, v134
	;; [unrolled: 1-line block ×3, first 2 shown]
	s_delay_alu instid0(VALU_DEP_3) | instskip(NEXT) | instid1(VALU_DEP_3)
	v_add3_u32 v44, 0, v91, v44
	v_add3_u32 v45, 0, v92, v45
	s_delay_alu instid0(VALU_DEP_3)
	v_add3_u32 v46, 0, v93, v46
	ds_store_b128 v44, v[47:50]
	ds_store_b128 v44, v[55:58] offset:192
	ds_store_b128 v44, v[59:62] offset:384
	ds_store_b128 v44, v[63:66] offset:576
	ds_store_b128 v44, v[67:70] offset:768
	ds_store_b128 v44, v[71:74] offset:960
	ds_store_b128 v44, v[75:78] offset:1152
	ds_store_b128 v45, v[51:54]
	ds_store_b128 v45, v[79:82] offset:192
	ds_store_b128 v45, v[83:86] offset:384
	ds_store_b128 v45, v[87:90] offset:576
	ds_store_b128 v45, v[4:7] offset:768
	ds_store_b128 v45, v[16:19] offset:960
	ds_store_b128 v45, v[12:15] offset:1152
	;; [unrolled: 7-line block ×3, first 2 shown]
	global_wb scope:SCOPE_SE
	s_wait_dscnt 0x0
	s_barrier_signal -1
	s_barrier_wait -1
	global_inv scope:SCOPE_SE
	ds_load_b128 v[44:47], v152
	ds_load_b128 v[84:87], v152 offset:1344
	ds_load_b128 v[80:83], v152 offset:2688
	;; [unrolled: 1-line block ×10, first 2 shown]
	s_and_saveexec_b32 s1, s0
	s_cbranch_execz .LBB0_27
; %bb.26:
	ds_load_b128 v[4:7], v152 offset:704
	ds_load_b128 v[16:19], v152 offset:2048
	;; [unrolled: 1-line block ×11, first 2 shown]
.LBB0_27:
	s_wait_alu 0xfffe
	s_or_b32 exec_lo, exec_lo, s1
	v_mul_u32_u24_e32 v88, 10, v96
	s_mov_b32 s10, 0xf8bb580b
	s_mov_b32 s2, 0x8764f0ba
	s_mov_b32 s12, 0x8eee2c13
	s_mov_b32 s6, 0xd9c712b6
	v_lshlrev_b32_e32 v128, 4, v88
	s_mov_b32 s11, 0xbfe14ced
	s_mov_b32 s3, 0x3feaeb8c
	;; [unrolled: 1-line block ×4, first 2 shown]
	s_clause 0x9
	global_load_b128 v[88:91], v128, s[4:5] offset:1312
	global_load_b128 v[92:95], v128, s[4:5] offset:1456
	;; [unrolled: 1-line block ×10, first 2 shown]
	s_mov_b32 s18, 0x43842ef
	s_mov_b32 s24, 0x640f44db
	;; [unrolled: 1-line block ×14, first 2 shown]
	s_wait_alu 0xfffe
	s_mov_b32 s20, s10
	s_mov_b32 s22, s12
	;; [unrolled: 1-line block ×8, first 2 shown]
	global_wb scope:SCOPE_SE
	s_wait_loadcnt_dscnt 0x0
	s_barrier_signal -1
	s_barrier_wait -1
	global_inv scope:SCOPE_SE
	v_mul_f64_e32 v[132:133], v[86:87], v[90:91]
	v_mul_f64_e32 v[90:91], v[84:85], v[90:91]
	;; [unrolled: 1-line block ×14, first 2 shown]
	v_fma_f64 v[84:85], v[84:85], v[88:89], v[132:133]
	v_fma_f64 v[86:87], v[86:87], v[88:89], -v[90:91]
	v_mul_f64_e32 v[88:89], v[64:65], v[110:111]
	v_mul_f64_e32 v[90:91], v[68:69], v[114:115]
	;; [unrolled: 1-line block ×5, first 2 shown]
	v_fma_f64 v[78:79], v[78:79], v[92:93], -v[134:135]
	v_fma_f64 v[134:135], v[82:83], v[100:101], -v[136:137]
	v_fma_f64 v[80:81], v[80:81], v[100:101], v[102:103]
	v_mul_f64_e32 v[118:119], v[60:61], v[118:119]
	v_fma_f64 v[74:75], v[74:75], v[104:105], -v[138:139]
	v_fma_f64 v[56:57], v[56:57], v[120:121], v[140:141]
	v_fma_f64 v[58:59], v[58:59], v[120:121], -v[122:123]
	v_fma_f64 v[82:83], v[48:49], v[124:125], v[126:127]
	v_fma_f64 v[48:49], v[52:53], v[128:129], v[130:131]
	v_add_f64_e32 v[100:101], v[44:45], v[84:85]
	v_add_f64_e32 v[102:103], v[46:47], v[86:87]
	v_fma_f64 v[136:137], v[66:67], v[108:109], -v[88:89]
	v_fma_f64 v[66:67], v[76:77], v[92:93], v[94:95]
	v_fma_f64 v[92:93], v[64:65], v[108:109], v[110:111]
	v_fma_f64 v[64:65], v[72:73], v[104:105], v[106:107]
	v_fma_f64 v[72:73], v[60:61], v[116:117], v[132:133]
	v_fma_f64 v[60:61], v[68:69], v[112:113], v[114:115]
	v_add_f64_e64 v[94:95], v[86:87], -v[78:79]
	v_add_f64_e32 v[104:105], v[86:87], v[78:79]
	v_fma_f64 v[68:69], v[62:63], v[116:117], -v[118:119]
	v_fma_f64 v[62:63], v[50:51], v[124:125], -v[142:143]
	;; [unrolled: 1-line block ×4, first 2 shown]
	v_add_f64_e64 v[106:107], v[134:135], -v[74:75]
	v_add_f64_e32 v[108:109], v[134:135], v[74:75]
	v_add_f64_e32 v[122:123], v[82:83], v[48:49]
	v_add_f64_e64 v[124:125], v[82:83], -v[48:49]
	v_add_f64_e32 v[100:101], v[100:101], v[80:81]
	v_add_f64_e32 v[102:103], v[102:103], v[134:135]
	;; [unrolled: 1-line block ×3, first 2 shown]
	v_add_f64_e64 v[90:91], v[84:85], -v[66:67]
	v_add_f64_e32 v[84:85], v[80:81], v[64:65]
	v_add_f64_e64 v[86:87], v[80:81], -v[64:65]
	v_add_f64_e32 v[54:55], v[92:93], v[60:61]
	v_add_f64_e64 v[52:53], v[92:93], -v[60:61]
	v_mul_f64_e32 v[126:127], s[10:11], v[94:95]
	v_mul_f64_e32 v[128:129], s[2:3], v[104:105]
	;; [unrolled: 1-line block ×3, first 2 shown]
	v_add_f64_e32 v[118:119], v[62:63], v[50:51]
	v_mul_f64_e32 v[132:133], s[6:7], v[104:105]
	v_mul_f64_e32 v[134:135], s[18:19], v[94:95]
	;; [unrolled: 1-line block ×7, first 2 shown]
	v_add_f64_e32 v[76:77], v[72:73], v[56:57]
	v_add_f64_e32 v[114:115], v[68:69], v[58:59]
	v_add_f64_e64 v[116:117], v[68:69], -v[58:59]
	v_add_f64_e64 v[80:81], v[72:73], -v[56:57]
	v_add_f64_e64 v[110:111], v[136:137], -v[70:71]
	v_add_f64_e32 v[112:113], v[136:137], v[70:71]
	v_mul_f64_e32 v[144:145], s[12:13], v[106:107]
	v_mul_f64_e32 v[146:147], s[6:7], v[108:109]
	;; [unrolled: 1-line block ×6, first 2 shown]
	v_add_f64_e64 v[120:121], v[62:63], -v[50:51]
	v_add_f64_e32 v[92:93], v[100:101], v[92:93]
	v_add_f64_e32 v[100:101], v[102:103], v[136:137]
	v_mul_f64_e32 v[102:103], s[14:15], v[108:109]
	v_mul_f64_e32 v[136:137], s[34:35], v[106:107]
	s_wait_alu 0xfffe
	v_mul_f64_e32 v[106:107], s[20:21], v[106:107]
	v_mul_f64_e32 v[108:109], s[2:3], v[108:109]
	v_fma_f64 v[205:206], v[88:89], s[6:7], v[130:131]
	v_mul_f64_e32 v[191:192], s[16:17], v[118:119]
	v_mul_f64_e32 v[195:196], s[2:3], v[118:119]
	;; [unrolled: 1-line block ×4, first 2 shown]
	v_fma_f64 v[207:208], v[90:91], s[22:23], v[132:133]
	v_fma_f64 v[130:131], v[88:89], s[6:7], -v[130:131]
	v_fma_f64 v[132:133], v[90:91], s[12:13], v[132:133]
	v_fma_f64 v[209:210], v[88:89], s[24:25], v[134:135]
	;; [unrolled: 1-line block ×3, first 2 shown]
	v_fma_f64 v[134:135], v[88:89], s[24:25], -v[134:135]
	v_fma_f64 v[213:214], v[88:89], s[14:15], v[140:141]
	v_fma_f64 v[215:216], v[90:91], s[36:37], v[142:143]
	v_fma_f64 v[140:141], v[88:89], s[14:15], -v[140:141]
	v_fma_f64 v[217:218], v[88:89], s[16:17], v[94:95]
	v_fma_f64 v[219:220], v[90:91], s[34:35], v[104:105]
	v_fma_f64 v[138:139], v[90:91], s[18:19], v[138:139]
	v_fma_f64 v[142:143], v[90:91], s[26:27], v[142:143]
	v_mul_f64_e32 v[157:158], s[18:19], v[110:111]
	v_mul_f64_e32 v[161:162], s[34:35], v[110:111]
	;; [unrolled: 1-line block ×3, first 2 shown]
	v_fma_f64 v[221:222], v[84:85], s[14:15], v[148:149]
	v_mul_f64_e32 v[165:166], s[22:23], v[110:111]
	v_mul_f64_e32 v[167:168], s[6:7], v[112:113]
	v_fma_f64 v[148:149], v[84:85], s[14:15], -v[148:149]
	v_fma_f64 v[227:228], v[86:87], s[28:29], v[150:151]
	v_mul_f64_e32 v[159:160], s[24:25], v[112:113]
	v_add_f64_e32 v[72:73], v[92:93], v[72:73]
	v_add_f64_e32 v[68:69], v[100:101], v[68:69]
	v_mul_f64_e32 v[92:93], s[24:25], v[118:119]
	v_fma_f64 v[100:101], v[88:89], s[2:3], v[126:127]
	v_fma_f64 v[118:119], v[90:91], s[20:21], v[128:129]
	v_fma_f64 v[126:127], v[88:89], s[2:3], -v[126:127]
	v_fma_f64 v[128:129], v[90:91], s[10:11], v[128:129]
	v_fma_f64 v[88:89], v[88:89], s[16:17], -v[94:95]
	v_fma_f64 v[90:91], v[90:91], s[28:29], v[104:105]
	v_fma_f64 v[94:95], v[84:85], s[6:7], v[144:145]
	v_fma_f64 v[104:105], v[86:87], s[22:23], v[146:147]
	v_fma_f64 v[223:224], v[86:87], s[36:37], v[102:103]
	v_add_f64_e32 v[205:206], v[44:45], v[205:206]
	v_fma_f64 v[102:103], v[86:87], s[26:27], v[102:103]
	v_fma_f64 v[225:226], v[84:85], s[16:17], v[136:137]
	v_mul_f64_e32 v[169:170], s[10:11], v[110:111]
	v_add_f64_e32 v[207:208], v[46:47], v[207:208]
	v_add_f64_e32 v[130:131], v[44:45], v[130:131]
	v_add_f64_e32 v[132:133], v[46:47], v[132:133]
	v_add_f64_e32 v[209:210], v[44:45], v[209:210]
	v_add_f64_e32 v[211:212], v[46:47], v[211:212]
	v_mul_f64_e32 v[171:172], s[2:3], v[112:113]
	v_fma_f64 v[136:137], v[84:85], s[16:17], -v[136:137]
	v_fma_f64 v[229:230], v[84:85], s[24:25], v[153:154]
	v_fma_f64 v[231:232], v[86:87], s[18:19], v[155:156]
	v_add_f64_e32 v[134:135], v[44:45], v[134:135]
	v_add_f64_e32 v[213:214], v[44:45], v[213:214]
	;; [unrolled: 1-line block ×3, first 2 shown]
	v_mul_f64_e32 v[110:111], s[26:27], v[110:111]
	v_mul_f64_e32 v[112:113], s[14:15], v[112:113]
	v_fma_f64 v[153:154], v[84:85], s[24:25], -v[153:154]
	v_add_f64_e32 v[140:141], v[44:45], v[140:141]
	v_add_f64_e32 v[217:218], v[44:45], v[217:218]
	;; [unrolled: 1-line block ×3, first 2 shown]
	v_fma_f64 v[144:145], v[84:85], s[6:7], -v[144:145]
	v_fma_f64 v[146:147], v[86:87], s[12:13], v[146:147]
	v_fma_f64 v[150:151], v[86:87], s[34:35], v[150:151]
	v_add_f64_e32 v[142:143], v[46:47], v[142:143]
	v_add_f64_e32 v[72:73], v[72:73], v[82:83]
	v_add_f64_e32 v[62:63], v[68:69], v[62:63]
	v_fma_f64 v[68:69], v[86:87], s[30:31], v[155:156]
	v_add_f64_e32 v[100:101], v[44:45], v[100:101]
	v_add_f64_e32 v[118:119], v[46:47], v[118:119]
	v_fma_f64 v[82:83], v[84:85], s[2:3], v[106:107]
	v_fma_f64 v[155:156], v[86:87], s[10:11], v[108:109]
	v_fma_f64 v[84:85], v[84:85], s[2:3], -v[106:107]
	v_fma_f64 v[86:87], v[86:87], s[20:21], v[108:109]
	v_add_f64_e32 v[88:89], v[44:45], v[88:89]
	v_add_f64_e32 v[90:91], v[46:47], v[90:91]
	;; [unrolled: 1-line block ×5, first 2 shown]
	v_mul_f64_e32 v[177:178], s[30:31], v[116:117]
	v_mul_f64_e32 v[179:180], s[24:25], v[114:115]
	v_fma_f64 v[106:107], v[54:55], s[24:25], v[157:158]
	v_fma_f64 v[233:234], v[54:55], s[16:17], v[161:162]
	;; [unrolled: 1-line block ×3, first 2 shown]
	v_mul_f64_e32 v[181:182], s[10:11], v[116:117]
	v_mul_f64_e32 v[183:184], s[2:3], v[114:115]
	v_fma_f64 v[237:238], v[54:55], s[6:7], v[165:166]
	v_add_f64_e32 v[130:131], v[148:149], v[130:131]
	v_add_f64_e32 v[102:103], v[102:103], v[132:133]
	;; [unrolled: 1-line block ×4, first 2 shown]
	v_mul_f64_e32 v[173:174], s[26:27], v[116:117]
	v_mul_f64_e32 v[185:186], s[28:29], v[116:117]
	;; [unrolled: 1-line block ×3, first 2 shown]
	v_fma_f64 v[108:109], v[52:53], s[30:31], v[159:160]
	v_fma_f64 v[161:162], v[54:55], s[16:17], -v[161:162]
	v_fma_f64 v[165:166], v[54:55], s[6:7], -v[165:166]
	v_fma_f64 v[239:240], v[54:55], s[2:3], v[169:170]
	v_fma_f64 v[126:127], v[52:53], s[20:21], v[171:172]
	v_add_f64_e32 v[134:135], v[136:137], v[134:135]
	v_add_f64_e32 v[136:137], v[229:230], v[213:214]
	v_mul_f64_e32 v[175:176], s[14:15], v[114:115]
	v_mul_f64_e32 v[116:117], s[22:23], v[116:117]
	v_add_f64_e32 v[48:49], v[72:73], v[48:49]
	v_add_f64_e32 v[50:51], v[62:63], v[50:51]
	v_fma_f64 v[72:73], v[52:53], s[12:13], v[167:168]
	v_add_f64_e32 v[94:95], v[94:95], v[100:101]
	v_add_f64_e32 v[100:101], v[104:105], v[118:119]
	;; [unrolled: 1-line block ×5, first 2 shown]
	v_mul_f64_e32 v[114:115], s[6:7], v[114:115]
	v_fma_f64 v[157:158], v[54:55], s[24:25], -v[157:158]
	v_fma_f64 v[169:170], v[54:55], s[2:3], -v[169:170]
	v_fma_f64 v[62:63], v[54:55], s[14:15], v[110:111]
	v_fma_f64 v[54:55], v[54:55], s[14:15], -v[110:111]
	v_fma_f64 v[110:111], v[52:53], s[22:23], v[167:168]
	v_fma_f64 v[167:168], v[52:53], s[36:37], v[112:113]
	v_add_f64_e32 v[140:141], v[153:154], v[140:141]
	v_add_f64_e32 v[82:83], v[82:83], v[217:218]
	;; [unrolled: 1-line block ×3, first 2 shown]
	v_fma_f64 v[159:160], v[52:53], s[18:19], v[159:160]
	v_fma_f64 v[163:164], v[52:53], s[34:35], v[163:164]
	;; [unrolled: 1-line block ×4, first 2 shown]
	v_add_f64_e32 v[84:85], v[84:85], v[88:89]
	v_add_f64_e32 v[86:87], v[86:87], v[90:91]
	;; [unrolled: 1-line block ×6, first 2 shown]
	v_mul_f64_e32 v[193:194], s[20:21], v[120:121]
	v_fma_f64 v[241:242], v[76:77], s[24:25], v[177:178]
	v_fma_f64 v[243:244], v[80:81], s[18:19], v[179:180]
	v_mul_f64_e32 v[197:198], s[26:27], v[120:121]
	v_mul_f64_e32 v[201:202], s[22:23], v[120:121]
	v_fma_f64 v[112:113], v[76:77], s[14:15], v[173:174]
	v_fma_f64 v[90:91], v[76:77], s[2:3], -v[181:182]
	v_fma_f64 v[142:143], v[76:77], s[16:17], v[185:186]
	v_fma_f64 v[144:145], v[80:81], s[34:35], v[187:188]
	v_mul_f64_e32 v[189:190], s[28:29], v[120:121]
	v_add_f64_e32 v[48:49], v[48:49], v[56:57]
	v_add_f64_e32 v[50:51], v[50:51], v[58:59]
	v_fma_f64 v[56:57], v[76:77], s[2:3], v[181:182]
	v_add_f64_e32 v[94:95], v[106:107], v[94:95]
	v_fma_f64 v[58:59], v[80:81], s[20:21], v[183:184]
	v_add_f64_e32 v[104:105], v[233:234], v[104:105]
	v_add_f64_e32 v[106:107], v[235:236], v[118:119]
	;; [unrolled: 1-line block ×9, first 2 shown]
	v_mul_f64_e32 v[120:121], s[18:19], v[120:121]
	v_fma_f64 v[173:174], v[76:77], s[14:15], -v[173:174]
	v_fma_f64 v[177:178], v[76:77], s[24:25], -v[177:178]
	;; [unrolled: 1-line block ×3, first 2 shown]
	v_fma_f64 v[155:156], v[76:77], s[6:7], v[116:117]
	v_fma_f64 v[76:77], v[76:77], s[6:7], -v[116:117]
	v_fma_f64 v[116:117], v[80:81], s[12:13], v[114:115]
	v_add_f64_e32 v[62:63], v[62:63], v[82:83]
	v_add_f64_e32 v[82:83], v[167:168], v[153:154]
	v_fma_f64 v[171:172], v[80:81], s[36:37], v[175:176]
	v_fma_f64 v[175:176], v[80:81], s[26:27], v[175:176]
	;; [unrolled: 1-line block ×6, first 2 shown]
	v_add_f64_e32 v[54:55], v[54:55], v[84:85]
	v_add_f64_e32 v[52:53], v[52:53], v[86:87]
	;; [unrolled: 1-line block ×8, first 2 shown]
	v_fma_f64 v[110:111], v[122:123], s[14:15], v[197:198]
	v_add_f64_e32 v[48:49], v[48:49], v[60:61]
	v_add_f64_e32 v[50:51], v[50:51], v[70:71]
	v_fma_f64 v[60:61], v[122:123], s[2:3], v[193:194]
	v_fma_f64 v[70:71], v[124:125], s[10:11], v[195:196]
	;; [unrolled: 1-line block ×3, first 2 shown]
	v_add_f64_e32 v[104:105], v[241:242], v[104:105]
	v_add_f64_e32 v[106:107], v[243:244], v[106:107]
	;; [unrolled: 1-line block ×4, first 2 shown]
	v_fma_f64 v[148:149], v[122:123], s[6:7], v[201:202]
	v_fma_f64 v[153:154], v[124:125], s[12:13], v[203:204]
	v_add_f64_e32 v[94:95], v[112:113], v[94:95]
	v_add_f64_e32 v[72:73], v[90:91], v[130:131]
	;; [unrolled: 1-line block ×4, first 2 shown]
	v_fma_f64 v[161:162], v[122:123], s[24:25], v[120:121]
	v_fma_f64 v[163:164], v[124:125], s[30:31], v[92:93]
	v_fma_f64 v[86:87], v[122:123], s[2:3], -v[193:194]
	v_fma_f64 v[120:121], v[122:123], s[24:25], -v[120:121]
	v_fma_f64 v[92:93], v[124:125], s[18:19], v[92:93]
	v_add_f64_e32 v[108:109], v[177:178], v[108:109]
	v_add_f64_e32 v[62:63], v[155:156], v[62:63]
	;; [unrolled: 1-line block ×3, first 2 shown]
	v_fma_f64 v[114:115], v[122:123], s[16:17], v[189:190]
	v_fma_f64 v[183:184], v[122:123], s[16:17], -v[189:190]
	v_fma_f64 v[136:137], v[122:123], s[14:15], -v[197:198]
	;; [unrolled: 1-line block ×3, first 2 shown]
	v_fma_f64 v[159:160], v[124:125], s[22:23], v[203:204]
	v_fma_f64 v[181:182], v[124:125], s[34:35], v[191:192]
	v_add_f64_e32 v[76:77], v[76:77], v[54:55]
	v_add_f64_e32 v[116:117], v[80:81], v[52:53]
	;; [unrolled: 1-line block ×4, first 2 shown]
	v_fma_f64 v[185:186], v[124:125], s[28:29], v[191:192]
	v_fma_f64 v[88:89], v[124:125], s[20:21], v[195:196]
	;; [unrolled: 1-line block ×3, first 2 shown]
	v_add_f64_e32 v[124:125], v[138:139], v[84:85]
	v_add_f64_e32 v[102:103], v[179:180], v[102:103]
	;; [unrolled: 1-line block ×29, first 2 shown]
	ds_store_b128 v152, v[48:51] offset:2688
	ds_store_b128 v152, v[56:59] offset:4032
	;; [unrolled: 1-line block ×9, first 2 shown]
	ds_store_b128 v152, v[76:79]
	ds_store_b128 v152, v[64:67] offset:13440
	s_and_saveexec_b32 s1, s0
	s_cbranch_execz .LBB0_29
; %bb.28:
	v_subrev_nc_u32_e32 v44, 40, v96
	v_mov_b32_e32 v45, 0
	s_delay_alu instid0(VALU_DEP_2) | instskip(NEXT) | instid1(VALU_DEP_1)
	v_cndmask_b32_e64 v44, v44, v97, s0
	v_mul_i32_i24_e32 v44, 10, v44
	s_delay_alu instid0(VALU_DEP_1) | instskip(NEXT) | instid1(VALU_DEP_1)
	v_lshlrev_b64_e32 v[44:45], 4, v[44:45]
	v_add_co_u32 v80, s0, s4, v44
	s_wait_alu 0xf1ff
	s_delay_alu instid0(VALU_DEP_2)
	v_add_co_ci_u32_e64 v81, s0, s5, v45, s0
	s_clause 0x9
	global_load_b128 v[44:47], v[80:81], off offset:1312
	global_load_b128 v[48:51], v[80:81], off offset:1376
	;; [unrolled: 1-line block ×10, first 2 shown]
	s_wait_loadcnt 0x9
	v_mul_f64_e32 v[84:85], v[16:17], v[46:47]
	v_mul_f64_e32 v[46:47], v[18:19], v[46:47]
	s_wait_loadcnt 0x7
	v_mul_f64_e32 v[88:89], v[30:31], v[54:55]
	s_wait_loadcnt 0x6
	v_mul_f64_e32 v[90:91], v[22:23], v[58:59]
	v_mul_f64_e32 v[58:59], v[20:21], v[58:59]
	s_wait_loadcnt 0x4
	v_mul_f64_e32 v[94:95], v[10:11], v[66:67]
	s_wait_loadcnt 0x3
	;; [unrolled: 2-line block ×4, first 2 shown]
	v_mul_f64_e32 v[104:105], v[42:43], v[78:79]
	v_mul_f64_e32 v[66:67], v[8:9], v[66:67]
	;; [unrolled: 1-line block ×5, first 2 shown]
	s_wait_loadcnt 0x0
	v_mul_f64_e32 v[106:107], v[2:3], v[82:83]
	v_mul_f64_e32 v[82:83], v[0:1], v[82:83]
	;; [unrolled: 1-line block ×7, first 2 shown]
	v_fma_f64 v[18:19], v[18:19], v[44:45], -v[84:85]
	v_fma_f64 v[44:45], v[16:17], v[44:45], v[46:47]
	v_fma_f64 v[28:29], v[28:29], v[52:53], v[88:89]
	;; [unrolled: 1-line block ×3, first 2 shown]
	v_fma_f64 v[22:23], v[22:23], v[56:57], -v[58:59]
	v_fma_f64 v[46:47], v[8:9], v[64:65], v[94:95]
	v_fma_f64 v[16:17], v[36:37], v[68:69], v[100:101]
	;; [unrolled: 1-line block ×4, first 2 shown]
	v_fma_f64 v[40:41], v[10:11], v[64:65], -v[66:67]
	v_fma_f64 v[12:13], v[38:39], v[68:69], -v[70:71]
	;; [unrolled: 1-line block ×4, first 2 shown]
	v_fma_f64 v[0:1], v[0:1], v[80:81], v[106:107]
	v_fma_f64 v[2:3], v[2:3], v[80:81], -v[82:83]
	v_fma_f64 v[32:33], v[32:33], v[60:61], v[92:93]
	v_fma_f64 v[34:35], v[34:35], v[60:61], -v[62:63]
	v_fma_f64 v[30:31], v[30:31], v[52:53], -v[54:55]
	v_fma_f64 v[24:25], v[24:25], v[48:49], v[86:87]
	v_fma_f64 v[26:27], v[26:27], v[48:49], -v[50:51]
	v_add_f64_e32 v[38:39], v[6:7], v[18:19]
	v_add_f64_e32 v[42:43], v[4:5], v[44:45]
	v_add_f64_e64 v[52:53], v[46:47], -v[16:17]
	v_add_f64_e32 v[78:79], v[46:47], v[16:17]
	v_add_f64_e64 v[54:55], v[36:37], -v[8:9]
	v_add_f64_e64 v[62:63], v[40:41], -v[12:13]
	v_add_f64_e32 v[72:73], v[40:41], v[12:13]
	v_add_f64_e64 v[64:65], v[14:15], -v[10:11]
	v_add_f64_e64 v[56:57], v[44:45], -v[0:1]
	;; [unrolled: 1-line block ×3, first 2 shown]
	v_add_f64_e32 v[18:19], v[18:19], v[2:3]
	v_add_f64_e32 v[44:45], v[44:45], v[0:1]
	v_add_f64_e64 v[50:51], v[20:21], -v[32:33]
	v_add_f64_e64 v[60:61], v[22:23], -v[34:35]
	v_add_f64_e32 v[70:71], v[22:23], v[34:35]
	v_add_f64_e32 v[76:77], v[20:21], v[32:33]
	v_add_f64_e64 v[48:49], v[24:25], -v[28:29]
	v_add_f64_e32 v[74:75], v[24:25], v[28:29]
	v_add_f64_e64 v[58:59], v[26:27], -v[30:31]
	v_add_f64_e32 v[68:69], v[26:27], v[30:31]
	v_add_f64_e32 v[38:39], v[38:39], v[14:15]
	;; [unrolled: 1-line block ×5, first 2 shown]
	v_mul_f64_e32 v[84:85], s[26:27], v[52:53]
	v_mul_f64_e32 v[124:125], s[22:23], v[52:53]
	;; [unrolled: 1-line block ×32, first 2 shown]
	v_add_f64_e32 v[38:39], v[38:39], v[40:41]
	v_add_f64_e32 v[40:41], v[42:43], v[46:47]
	v_mul_f64_e32 v[46:47], s[30:31], v[54:55]
	v_mul_f64_e32 v[54:55], s[12:13], v[54:55]
	v_mul_f64_e32 v[42:43], s[10:11], v[52:53]
	v_mul_f64_e32 v[52:53], s[18:19], v[52:53]
	v_fma_f64 v[161:162], v[72:73], s[14:15], v[84:85]
	v_fma_f64 v[84:85], v[72:73], s[14:15], -v[84:85]
	v_fma_f64 v[163:164], v[14:15], s[2:3], v[86:87]
	v_fma_f64 v[86:87], v[14:15], s[2:3], -v[86:87]
	v_fma_f64 v[193:194], v[14:15], s[14:15], v[146:147]
	v_fma_f64 v[146:147], v[14:15], s[14:15], -v[146:147]
	v_fma_f64 v[173:174], v[36:37], s[2:3], -v[100:101]
	v_fma_f64 v[165:166], v[18:19], s[16:17], v[88:89]
	v_fma_f64 v[175:176], v[44:45], s[16:17], -v[102:103]
	v_fma_f64 v[88:89], v[18:19], s[16:17], -v[88:89]
	v_fma_f64 v[102:103], v[44:45], s[16:17], v[102:103]
	v_fma_f64 v[177:178], v[18:19], s[14:15], v[108:109]
	v_fma_f64 v[179:180], v[44:45], s[14:15], -v[118:119]
	v_fma_f64 v[108:109], v[18:19], s[14:15], -v[108:109]
	v_fma_f64 v[118:119], v[44:45], s[14:15], v[118:119]
	v_fma_f64 v[181:182], v[18:19], s[24:25], v[128:129]
	v_fma_f64 v[183:184], v[18:19], s[6:7], -v[148:149]
	v_fma_f64 v[185:186], v[44:45], s[6:7], v[159:160]
	v_fma_f64 v[128:129], v[18:19], s[24:25], -v[128:129]
	;; [unrolled: 2-line block ×5, first 2 shown]
	v_fma_f64 v[100:101], v[36:37], s[2:3], v[100:101]
	v_fma_f64 v[56:57], v[36:37], s[24:25], v[116:117]
	v_fma_f64 v[191:192], v[36:37], s[16:17], -v[136:137]
	v_fma_f64 v[136:137], v[36:37], s[16:17], v[136:137]
	v_fma_f64 v[195:196], v[36:37], s[14:15], -v[157:158]
	;; [unrolled: 2-line block ×3, first 2 shown]
	v_add_f64_e32 v[22:23], v[38:39], v[22:23]
	v_add_f64_e32 v[20:21], v[40:41], v[20:21]
	v_mul_f64_e32 v[38:39], s[10:11], v[66:67]
	v_mul_f64_e32 v[40:41], s[12:13], v[64:65]
	v_fma_f64 v[197:198], v[14:15], s[6:7], v[54:55]
	v_fma_f64 v[94:95], v[78:79], s[14:15], v[94:95]
	;; [unrolled: 1-line block ×3, first 2 shown]
	v_fma_f64 v[203:204], v[78:79], s[24:25], -v[62:63]
	v_fma_f64 v[52:53], v[72:73], s[24:25], -v[52:53]
	v_fma_f64 v[62:63], v[78:79], s[24:25], v[62:63]
	v_mul_f64_e32 v[50:51], s[26:27], v[50:51]
	v_mul_f64_e32 v[60:61], s[26:27], v[60:61]
	;; [unrolled: 1-line block ×5, first 2 shown]
	v_add_f64_e32 v[88:89], v[6:7], v[88:89]
	v_add_f64_e32 v[102:103], v[4:5], v[102:103]
	v_mul_f64_e32 v[140:141], s[20:21], v[48:49]
	v_mul_f64_e32 v[150:151], s[20:21], v[58:59]
	v_add_f64_e32 v[108:109], v[6:7], v[108:109]
	v_add_f64_e32 v[118:119], v[4:5], v[118:119]
	v_mul_f64_e32 v[130:131], s[26:27], v[58:59]
	v_mul_f64_e32 v[80:81], s[18:19], v[48:49]
	;; [unrolled: 1-line block ×3, first 2 shown]
	v_add_f64_e32 v[128:129], v[6:7], v[128:129]
	v_mul_f64_e32 v[48:49], s[28:29], v[48:49]
	v_add_f64_e32 v[138:139], v[4:5], v[138:139]
	v_add_f64_e32 v[148:149], v[6:7], v[148:149]
	v_add_f64_e32 v[159:160], v[4:5], v[159:160]
	v_fma_f64 v[66:67], v[70:71], s[6:7], v[82:83]
	v_fma_f64 v[169:170], v[76:77], s[6:7], -v[92:93]
	v_fma_f64 v[82:83], v[70:71], s[6:7], -v[82:83]
	v_fma_f64 v[92:93], v[76:77], s[6:7], v[92:93]
	v_mul_f64_e32 v[58:59], s[28:29], v[58:59]
	v_add_f64_e32 v[22:23], v[22:23], v[26:27]
	v_add_f64_e32 v[20:21], v[20:21], v[24:25]
	v_fma_f64 v[24:25], v[44:45], s[2:3], v[38:39]
	v_fma_f64 v[26:27], v[44:45], s[2:3], -v[38:39]
	v_fma_f64 v[38:39], v[14:15], s[24:25], v[46:47]
	v_fma_f64 v[44:45], v[36:37], s[24:25], -v[116:117]
	v_fma_f64 v[46:47], v[14:15], s[24:25], -v[46:47]
	v_fma_f64 v[116:117], v[14:15], s[16:17], v[126:127]
	v_fma_f64 v[126:127], v[14:15], s[16:17], -v[126:127]
	v_fma_f64 v[199:200], v[36:37], s[6:7], -v[40:41]
	;; [unrolled: 1-line block ×3, first 2 shown]
	v_fma_f64 v[36:37], v[36:37], s[6:7], v[40:41]
	v_add_f64_e32 v[40:41], v[6:7], v[165:166]
	v_add_f64_e32 v[54:55], v[4:5], v[175:176]
	;; [unrolled: 1-line block ×10, first 2 shown]
	v_fma_f64 v[187:188], v[72:73], s[16:17], v[144:145]
	v_fma_f64 v[189:190], v[78:79], s[16:17], -v[155:156]
	v_fma_f64 v[144:145], v[72:73], s[16:17], -v[144:145]
	v_fma_f64 v[155:156], v[78:79], s[16:17], v[155:156]
	v_add_f64_e32 v[56:57], v[56:57], v[118:119]
	v_add_f64_e32 v[118:119], v[193:194], v[148:149]
	v_fma_f64 v[148:149], v[70:71], s[14:15], v[50:51]
	v_fma_f64 v[50:51], v[70:71], s[14:15], -v[50:51]
	v_fma_f64 v[64:65], v[68:69], s[24:25], v[80:81]
	v_fma_f64 v[167:168], v[74:75], s[24:25], -v[90:91]
	v_fma_f64 v[80:81], v[68:69], s[24:25], -v[80:81]
	v_fma_f64 v[90:91], v[74:75], s[24:25], v[90:91]
	v_add_f64_e32 v[18:19], v[22:23], v[30:31]
	v_add_f64_e32 v[20:21], v[20:21], v[28:29]
	;; [unrolled: 1-line block ×4, first 2 shown]
	v_fma_f64 v[24:25], v[72:73], s[2:3], v[42:43]
	v_fma_f64 v[26:27], v[78:79], s[2:3], -v[114:115]
	v_fma_f64 v[28:29], v[72:73], s[2:3], -v[42:43]
	v_fma_f64 v[30:31], v[78:79], s[2:3], v[114:115]
	v_fma_f64 v[42:43], v[72:73], s[6:7], v[124:125]
	v_fma_f64 v[114:115], v[78:79], s[6:7], -v[134:135]
	v_fma_f64 v[124:125], v[72:73], s[6:7], -v[124:125]
	v_fma_f64 v[134:135], v[78:79], s[6:7], v[134:135]
	v_add_f64_e32 v[72:73], v[86:87], v[88:89]
	v_add_f64_e32 v[78:79], v[100:101], v[102:103]
	;; [unrolled: 1-line block ×16, first 2 shown]
	v_fma_f64 v[136:137], v[70:71], s[24:25], v[142:143]
	v_fma_f64 v[142:143], v[70:71], s[24:25], -v[142:143]
	v_fma_f64 v[146:147], v[76:77], s[24:25], v[153:154]
	v_fma_f64 v[138:139], v[76:77], s[24:25], -v[153:154]
	v_fma_f64 v[153:154], v[76:77], s[14:15], -v[60:61]
	v_fma_f64 v[60:61], v[76:77], s[14:15], v[60:61]
	v_add_f64_e32 v[14:15], v[18:19], v[34:35]
	v_add_f64_e32 v[18:19], v[20:21], v[32:33]
	v_add_f64_e32 v[20:21], v[36:37], v[22:23]
	v_add_f64_e32 v[4:5], v[199:200], v[4:5]
	v_fma_f64 v[22:23], v[70:71], s[16:17], v[106:107]
	v_fma_f64 v[32:33], v[76:77], s[16:17], -v[112:113]
	v_fma_f64 v[34:35], v[70:71], s[16:17], -v[106:107]
	v_fma_f64 v[36:37], v[76:77], s[16:17], v[112:113]
	v_fma_f64 v[106:107], v[70:71], s[2:3], v[122:123]
	v_add_f64_e32 v[30:31], v[30:31], v[56:57]
	v_fma_f64 v[112:113], v[76:77], s[2:3], -v[132:133]
	v_fma_f64 v[122:123], v[70:71], s[2:3], -v[122:123]
	v_fma_f64 v[132:133], v[76:77], s[2:3], v[132:133]
	v_add_f64_e32 v[70:71], v[84:85], v[72:73]
	v_add_f64_e32 v[24:25], v[24:25], v[38:39]
	;; [unrolled: 1-line block ×17, first 2 shown]
	v_fma_f64 v[88:89], v[68:69], s[14:15], v[120:121]
	v_fma_f64 v[114:115], v[74:75], s[2:3], v[150:151]
	v_fma_f64 v[52:53], v[68:69], s[6:7], -v[104:105]
	v_fma_f64 v[100:101], v[68:69], s[14:15], -v[120:121]
	v_fma_f64 v[102:103], v[74:75], s[14:15], v[130:131]
	v_fma_f64 v[116:117], v[68:69], s[16:17], v[48:49]
	v_fma_f64 v[48:49], v[68:69], s[16:17], -v[48:49]
	v_fma_f64 v[94:95], v[74:75], s[14:15], -v[130:131]
	v_add_f64_e32 v[12:13], v[14:15], v[12:13]
	v_add_f64_e32 v[14:15], v[18:19], v[16:17]
	;; [unrolled: 1-line block ×4, first 2 shown]
	v_fma_f64 v[18:19], v[68:69], s[6:7], v[104:105]
	v_fma_f64 v[20:21], v[74:75], s[6:7], -v[110:111]
	v_fma_f64 v[62:63], v[74:75], s[6:7], v[110:111]
	v_fma_f64 v[110:111], v[68:69], s[2:3], -v[140:141]
	;; [unrolled: 2-line block ×3, first 2 shown]
	v_fma_f64 v[118:119], v[74:75], s[16:17], -v[58:59]
	v_fma_f64 v[58:59], v[74:75], s[16:17], v[58:59]
	v_add_f64_e32 v[22:23], v[22:23], v[24:25]
	v_add_f64_e32 v[24:25], v[32:33], v[26:27]
	;; [unrolled: 1-line block ×44, first 2 shown]
	ds_store_b128 v152, v[28:31] offset:3392
	ds_store_b128 v152, v[24:27] offset:4736
	;; [unrolled: 1-line block ×11, first 2 shown]
.LBB0_29:
	s_wait_alu 0xfffe
	s_or_b32 exec_lo, exec_lo, s1
	global_wb scope:SCOPE_SE
	s_wait_dscnt 0x0
	s_barrier_signal -1
	s_barrier_wait -1
	global_inv scope:SCOPE_SE
	s_and_saveexec_b32 s0, vcc_lo
	s_cbranch_execz .LBB0_31
; %bb.30:
	v_dual_mov_b32 v97, 0 :: v_dual_add_nc_u32 v8, 44, v96
	v_add_co_u32 v30, vcc_lo, s8, v98
	v_lshl_add_u32 v28, v96, 4, 0
	s_delay_alu instid0(VALU_DEP_3) | instskip(SKIP_4) | instid1(VALU_DEP_4)
	v_lshlrev_b64_e32 v[0:1], 4, v[96:97]
	s_wait_alu 0xfffd
	v_add_co_ci_u32_e32 v31, vcc_lo, s9, v99, vcc_lo
	v_dual_mov_b32 v9, v97 :: v_dual_add_nc_u32 v10, 0x58, v96
	v_dual_mov_b32 v11, v97 :: v_dual_add_nc_u32 v22, 0x84, v96
	v_add_co_u32 v16, vcc_lo, v30, v0
	s_wait_alu 0xfffd
	v_add_co_ci_u32_e32 v17, vcc_lo, v31, v1, vcc_lo
	ds_load_b128 v[0:3], v28
	ds_load_b128 v[4:7], v28 offset:704
	v_lshlrev_b64_e32 v[18:19], 4, v[8:9]
	v_lshlrev_b64_e32 v[20:21], 4, v[10:11]
	ds_load_b128 v[8:11], v28 offset:1408
	ds_load_b128 v[12:15], v28 offset:2112
	v_dual_mov_b32 v23, v97 :: v_dual_add_nc_u32 v24, 0xb0, v96
	v_mov_b32_e32 v25, v97
	v_add_co_u32 v18, vcc_lo, v30, v18
	s_delay_alu instid0(VALU_DEP_3)
	v_lshlrev_b64_e32 v[22:23], 4, v[22:23]
	s_wait_alu 0xfffd
	v_add_co_ci_u32_e32 v19, vcc_lo, v31, v19, vcc_lo
	v_add_co_u32 v20, vcc_lo, v30, v20
	s_wait_alu 0xfffd
	v_add_co_ci_u32_e32 v21, vcc_lo, v31, v21, vcc_lo
	v_add_co_u32 v22, vcc_lo, v30, v22
	s_wait_alu 0xfffd
	v_add_co_ci_u32_e32 v23, vcc_lo, v31, v23, vcc_lo
	s_wait_dscnt 0x3
	global_store_b128 v[16:17], v[0:3], off
	s_wait_dscnt 0x2
	global_store_b128 v[18:19], v[4:7], off
	;; [unrolled: 2-line block ×4, first 2 shown]
	v_add_nc_u32_e32 v8, 0xdc, v96
	v_lshlrev_b64_e32 v[0:1], 4, v[24:25]
	v_dual_mov_b32 v9, v97 :: v_dual_add_nc_u32 v10, 0x108, v96
	v_dual_mov_b32 v11, v97 :: v_dual_add_nc_u32 v22, 0x134, v96
	;; [unrolled: 1-line block ×3, first 2 shown]
	s_delay_alu instid0(VALU_DEP_4)
	v_add_co_u32 v16, vcc_lo, v30, v0
	s_wait_alu 0xfffd
	v_add_co_ci_u32_e32 v17, vcc_lo, v31, v1, vcc_lo
	ds_load_b128 v[0:3], v28 offset:2816
	ds_load_b128 v[4:7], v28 offset:3520
	v_lshlrev_b64_e32 v[18:19], 4, v[8:9]
	v_lshlrev_b64_e32 v[20:21], 4, v[10:11]
	ds_load_b128 v[8:11], v28 offset:4224
	ds_load_b128 v[12:15], v28 offset:4928
	v_lshlrev_b64_e32 v[22:23], 4, v[22:23]
	v_add_co_u32 v18, vcc_lo, v30, v18
	s_wait_alu 0xfffd
	v_add_co_ci_u32_e32 v19, vcc_lo, v31, v19, vcc_lo
	v_add_co_u32 v20, vcc_lo, v30, v20
	s_wait_alu 0xfffd
	v_add_co_ci_u32_e32 v21, vcc_lo, v31, v21, vcc_lo
	;; [unrolled: 3-line block ×3, first 2 shown]
	s_wait_dscnt 0x3
	global_store_b128 v[16:17], v[0:3], off
	s_wait_dscnt 0x2
	global_store_b128 v[18:19], v[4:7], off
	;; [unrolled: 2-line block ×4, first 2 shown]
	v_lshlrev_b64_e32 v[0:1], 4, v[24:25]
	v_dual_mov_b32 v9, v97 :: v_dual_add_nc_u32 v8, 0x18c, v96
	v_dual_mov_b32 v11, v97 :: v_dual_add_nc_u32 v10, 0x1b8, v96
	;; [unrolled: 1-line block ×3, first 2 shown]
	s_delay_alu instid0(VALU_DEP_4)
	v_add_co_u32 v16, vcc_lo, v30, v0
	s_wait_alu 0xfffd
	v_add_co_ci_u32_e32 v17, vcc_lo, v31, v1, vcc_lo
	ds_load_b128 v[0:3], v28 offset:5632
	ds_load_b128 v[4:7], v28 offset:6336
	v_lshlrev_b64_e32 v[18:19], 4, v[8:9]
	v_lshlrev_b64_e32 v[20:21], 4, v[10:11]
	ds_load_b128 v[8:11], v28 offset:7040
	ds_load_b128 v[12:15], v28 offset:7744
	v_lshlrev_b64_e32 v[22:23], 4, v[22:23]
	v_add_nc_u32_e32 v24, 0x210, v96
	v_add_co_u32 v18, vcc_lo, v30, v18
	s_wait_alu 0xfffd
	v_add_co_ci_u32_e32 v19, vcc_lo, v31, v19, vcc_lo
	v_add_co_u32 v20, vcc_lo, v30, v20
	s_wait_alu 0xfffd
	v_add_co_ci_u32_e32 v21, vcc_lo, v31, v21, vcc_lo
	;; [unrolled: 3-line block ×3, first 2 shown]
	s_wait_dscnt 0x3
	global_store_b128 v[16:17], v[0:3], off
	s_wait_dscnt 0x2
	global_store_b128 v[18:19], v[4:7], off
	;; [unrolled: 2-line block ×4, first 2 shown]
	v_mov_b32_e32 v9, v97
	v_lshlrev_b64_e32 v[0:1], 4, v[24:25]
	v_dual_mov_b32 v11, v97 :: v_dual_add_nc_u32 v8, 0x23c, v96
	v_dual_mov_b32 v23, v97 :: v_dual_add_nc_u32 v10, 0x268, v96
	v_add_nc_u32_e32 v22, 0x294, v96
	s_delay_alu instid0(VALU_DEP_4)
	v_add_co_u32 v16, vcc_lo, v30, v0
	s_wait_alu 0xfffd
	v_add_co_ci_u32_e32 v17, vcc_lo, v31, v1, vcc_lo
	ds_load_b128 v[0:3], v28 offset:8448
	ds_load_b128 v[4:7], v28 offset:9152
	v_lshlrev_b64_e32 v[18:19], 4, v[8:9]
	v_lshlrev_b64_e32 v[20:21], 4, v[10:11]
	ds_load_b128 v[8:11], v28 offset:9856
	ds_load_b128 v[12:15], v28 offset:10560
	v_add_nc_u32_e32 v24, 0x2c0, v96
	v_add_co_u32 v18, vcc_lo, v30, v18
	s_wait_alu 0xfffd
	v_add_co_ci_u32_e32 v19, vcc_lo, v31, v19, vcc_lo
	s_wait_dscnt 0x3
	global_store_b128 v[16:17], v[0:3], off
	s_wait_dscnt 0x2
	global_store_b128 v[18:19], v[4:7], off
	v_mov_b32_e32 v3, v97
	v_lshlrev_b64_e32 v[22:23], 4, v[22:23]
	v_add_co_u32 v20, vcc_lo, v30, v20
	s_wait_alu 0xfffd
	v_add_co_ci_u32_e32 v21, vcc_lo, v31, v21, vcc_lo
	v_add_nc_u32_e32 v2, 0x2ec, v96
	s_delay_alu instid0(VALU_DEP_4)
	v_add_co_u32 v22, vcc_lo, v30, v22
	s_wait_alu 0xfffd
	v_add_co_ci_u32_e32 v23, vcc_lo, v31, v23, vcc_lo
	s_wait_dscnt 0x1
	global_store_b128 v[20:21], v[8:11], off
	s_wait_dscnt 0x0
	global_store_b128 v[22:23], v[12:15], off
	v_mov_b32_e32 v11, v97
	v_lshlrev_b64_e32 v[0:1], 4, v[24:25]
	v_lshlrev_b64_e32 v[8:9], 4, v[2:3]
	v_add_nc_u32_e32 v10, 0x318, v96
	v_add_nc_u32_e32 v24, 0x344, v96
	;; [unrolled: 1-line block ×3, first 2 shown]
	v_add_co_u32 v20, vcc_lo, v30, v0
	s_wait_alu 0xfffd
	v_add_co_ci_u32_e32 v21, vcc_lo, v31, v1, vcc_lo
	v_add_co_u32 v22, vcc_lo, v30, v8
	ds_load_b128 v[0:3], v28 offset:11264
	ds_load_b128 v[4:7], v28 offset:11968
	s_wait_alu 0xfffd
	v_add_co_ci_u32_e32 v23, vcc_lo, v31, v9, vcc_lo
	v_lshlrev_b64_e32 v[26:27], 4, v[10:11]
	ds_load_b128 v[8:11], v28 offset:12672
	ds_load_b128 v[12:15], v28 offset:13376
	;; [unrolled: 1-line block ×3, first 2 shown]
	v_lshlrev_b64_e32 v[24:25], 4, v[24:25]
	v_lshlrev_b64_e32 v[28:29], 4, v[96:97]
	v_add_co_u32 v26, vcc_lo, v30, v26
	s_wait_alu 0xfffd
	v_add_co_ci_u32_e32 v27, vcc_lo, v31, v27, vcc_lo
	s_delay_alu instid0(VALU_DEP_4)
	v_add_co_u32 v24, vcc_lo, v30, v24
	s_wait_alu 0xfffd
	v_add_co_ci_u32_e32 v25, vcc_lo, v31, v25, vcc_lo
	v_add_co_u32 v28, vcc_lo, v30, v28
	s_wait_alu 0xfffd
	v_add_co_ci_u32_e32 v29, vcc_lo, v31, v29, vcc_lo
	s_wait_dscnt 0x4
	global_store_b128 v[20:21], v[0:3], off
	s_wait_dscnt 0x3
	global_store_b128 v[22:23], v[4:7], off
	;; [unrolled: 2-line block ×5, first 2 shown]
.LBB0_31:
	s_nop 0
	s_sendmsg sendmsg(MSG_DEALLOC_VGPRS)
	s_endpgm
	.section	.rodata,"a",@progbits
	.p2align	6, 0x0
	.amdhsa_kernel fft_rtc_back_len924_factors_2_2_3_7_11_wgs_44_tpt_44_halfLds_dp_ip_CI_unitstride_sbrr_C2R_dirReg
		.amdhsa_group_segment_fixed_size 0
		.amdhsa_private_segment_fixed_size 0
		.amdhsa_kernarg_size 88
		.amdhsa_user_sgpr_count 2
		.amdhsa_user_sgpr_dispatch_ptr 0
		.amdhsa_user_sgpr_queue_ptr 0
		.amdhsa_user_sgpr_kernarg_segment_ptr 1
		.amdhsa_user_sgpr_dispatch_id 0
		.amdhsa_user_sgpr_private_segment_size 0
		.amdhsa_wavefront_size32 1
		.amdhsa_uses_dynamic_stack 0
		.amdhsa_enable_private_segment 0
		.amdhsa_system_sgpr_workgroup_id_x 1
		.amdhsa_system_sgpr_workgroup_id_y 0
		.amdhsa_system_sgpr_workgroup_id_z 0
		.amdhsa_system_sgpr_workgroup_info 0
		.amdhsa_system_vgpr_workitem_id 0
		.amdhsa_next_free_vgpr 245
		.amdhsa_next_free_sgpr 38
		.amdhsa_reserve_vcc 1
		.amdhsa_float_round_mode_32 0
		.amdhsa_float_round_mode_16_64 0
		.amdhsa_float_denorm_mode_32 3
		.amdhsa_float_denorm_mode_16_64 3
		.amdhsa_fp16_overflow 0
		.amdhsa_workgroup_processor_mode 1
		.amdhsa_memory_ordered 1
		.amdhsa_forward_progress 0
		.amdhsa_round_robin_scheduling 0
		.amdhsa_exception_fp_ieee_invalid_op 0
		.amdhsa_exception_fp_denorm_src 0
		.amdhsa_exception_fp_ieee_div_zero 0
		.amdhsa_exception_fp_ieee_overflow 0
		.amdhsa_exception_fp_ieee_underflow 0
		.amdhsa_exception_fp_ieee_inexact 0
		.amdhsa_exception_int_div_zero 0
	.end_amdhsa_kernel
	.text
.Lfunc_end0:
	.size	fft_rtc_back_len924_factors_2_2_3_7_11_wgs_44_tpt_44_halfLds_dp_ip_CI_unitstride_sbrr_C2R_dirReg, .Lfunc_end0-fft_rtc_back_len924_factors_2_2_3_7_11_wgs_44_tpt_44_halfLds_dp_ip_CI_unitstride_sbrr_C2R_dirReg
                                        ; -- End function
	.section	.AMDGPU.csdata,"",@progbits
; Kernel info:
; codeLenInByte = 16844
; NumSgprs: 40
; NumVgprs: 245
; ScratchSize: 0
; MemoryBound: 0
; FloatMode: 240
; IeeeMode: 1
; LDSByteSize: 0 bytes/workgroup (compile time only)
; SGPRBlocks: 4
; VGPRBlocks: 30
; NumSGPRsForWavesPerEU: 40
; NumVGPRsForWavesPerEU: 245
; Occupancy: 5
; WaveLimiterHint : 1
; COMPUTE_PGM_RSRC2:SCRATCH_EN: 0
; COMPUTE_PGM_RSRC2:USER_SGPR: 2
; COMPUTE_PGM_RSRC2:TRAP_HANDLER: 0
; COMPUTE_PGM_RSRC2:TGID_X_EN: 1
; COMPUTE_PGM_RSRC2:TGID_Y_EN: 0
; COMPUTE_PGM_RSRC2:TGID_Z_EN: 0
; COMPUTE_PGM_RSRC2:TIDIG_COMP_CNT: 0
	.text
	.p2alignl 7, 3214868480
	.fill 96, 4, 3214868480
	.type	__hip_cuid_f2639385bf6c2c87,@object ; @__hip_cuid_f2639385bf6c2c87
	.section	.bss,"aw",@nobits
	.globl	__hip_cuid_f2639385bf6c2c87
__hip_cuid_f2639385bf6c2c87:
	.byte	0                               ; 0x0
	.size	__hip_cuid_f2639385bf6c2c87, 1

	.ident	"AMD clang version 19.0.0git (https://github.com/RadeonOpenCompute/llvm-project roc-6.4.0 25133 c7fe45cf4b819c5991fe208aaa96edf142730f1d)"
	.section	".note.GNU-stack","",@progbits
	.addrsig
	.addrsig_sym __hip_cuid_f2639385bf6c2c87
	.amdgpu_metadata
---
amdhsa.kernels:
  - .args:
      - .actual_access:  read_only
        .address_space:  global
        .offset:         0
        .size:           8
        .value_kind:     global_buffer
      - .offset:         8
        .size:           8
        .value_kind:     by_value
      - .actual_access:  read_only
        .address_space:  global
        .offset:         16
        .size:           8
        .value_kind:     global_buffer
      - .actual_access:  read_only
        .address_space:  global
        .offset:         24
        .size:           8
        .value_kind:     global_buffer
      - .offset:         32
        .size:           8
        .value_kind:     by_value
      - .actual_access:  read_only
        .address_space:  global
        .offset:         40
        .size:           8
        .value_kind:     global_buffer
      - .actual_access:  read_only
        .address_space:  global
        .offset:         48
        .size:           8
        .value_kind:     global_buffer
      - .offset:         56
        .size:           4
        .value_kind:     by_value
      - .actual_access:  read_only
        .address_space:  global
        .offset:         64
        .size:           8
        .value_kind:     global_buffer
      - .actual_access:  read_only
        .address_space:  global
        .offset:         72
        .size:           8
        .value_kind:     global_buffer
      - .address_space:  global
        .offset:         80
        .size:           8
        .value_kind:     global_buffer
    .group_segment_fixed_size: 0
    .kernarg_segment_align: 8
    .kernarg_segment_size: 88
    .language:       OpenCL C
    .language_version:
      - 2
      - 0
    .max_flat_workgroup_size: 44
    .name:           fft_rtc_back_len924_factors_2_2_3_7_11_wgs_44_tpt_44_halfLds_dp_ip_CI_unitstride_sbrr_C2R_dirReg
    .private_segment_fixed_size: 0
    .sgpr_count:     40
    .sgpr_spill_count: 0
    .symbol:         fft_rtc_back_len924_factors_2_2_3_7_11_wgs_44_tpt_44_halfLds_dp_ip_CI_unitstride_sbrr_C2R_dirReg.kd
    .uniform_work_group_size: 1
    .uses_dynamic_stack: false
    .vgpr_count:     245
    .vgpr_spill_count: 0
    .wavefront_size: 32
    .workgroup_processor_mode: 1
amdhsa.target:   amdgcn-amd-amdhsa--gfx1201
amdhsa.version:
  - 1
  - 2
...

	.end_amdgpu_metadata
